;; amdgpu-corpus repo=ROCm/rocFFT kind=compiled arch=gfx1201 opt=O3
	.text
	.amdgcn_target "amdgcn-amd-amdhsa--gfx1201"
	.amdhsa_code_object_version 6
	.protected	bluestein_single_fwd_len170_dim1_dp_op_CI_CI ; -- Begin function bluestein_single_fwd_len170_dim1_dp_op_CI_CI
	.globl	bluestein_single_fwd_len170_dim1_dp_op_CI_CI
	.p2align	8
	.type	bluestein_single_fwd_len170_dim1_dp_op_CI_CI,@function
bluestein_single_fwd_len170_dim1_dp_op_CI_CI: ; @bluestein_single_fwd_len170_dim1_dp_op_CI_CI
; %bb.0:
	s_load_b128 s[8:11], s[0:1], 0x28
	v_mul_u32_u24_e32 v1, 0xf10, v0
	s_mov_b32 s2, exec_lo
	s_delay_alu instid0(VALU_DEP_1) | instskip(NEXT) | instid1(VALU_DEP_1)
	v_lshrrev_b32_e32 v1, 16, v1
	v_mad_co_u64_u32 v[120:121], null, ttmp9, 7, v[1:2]
	v_mov_b32_e32 v121, 0
	s_wait_kmcnt 0x0
	s_delay_alu instid0(VALU_DEP_1)
	v_cmpx_gt_u64_e64 s[8:9], v[120:121]
	s_cbranch_execz .LBB0_15
; %bb.1:
	v_mul_hi_u32 v2, 0x24924925, v120
	v_mul_lo_u16 v1, v1, 17
	s_clause 0x1
	s_load_b64 s[8:9], s[0:1], 0x0
	s_load_b64 s[12:13], s[0:1], 0x38
	s_delay_alu instid0(VALU_DEP_1) | instskip(NEXT) | instid1(VALU_DEP_3)
	v_sub_nc_u16 v0, v0, v1
	v_sub_nc_u32_e32 v3, v120, v2
	s_delay_alu instid0(VALU_DEP_2) | instskip(SKIP_1) | instid1(VALU_DEP_3)
	v_and_b32_e32 v177, 0xffff, v0
	v_cmp_gt_u16_e32 vcc_lo, 10, v0
	v_lshrrev_b32_e32 v3, 1, v3
	s_delay_alu instid0(VALU_DEP_3) | instskip(SKIP_1) | instid1(VALU_DEP_3)
	v_or_b32_e32 v0, 0x50, v177
	v_lshlrev_b32_e32 v255, 4, v177
	v_add_nc_u32_e32 v2, v3, v2
	s_delay_alu instid0(VALU_DEP_1) | instskip(NEXT) | instid1(VALU_DEP_1)
	v_lshrrev_b32_e32 v2, 2, v2
	v_mul_lo_u32 v2, v2, 7
	s_delay_alu instid0(VALU_DEP_1) | instskip(NEXT) | instid1(VALU_DEP_1)
	v_sub_nc_u32_e32 v1, v120, v2
	v_mul_u32_u24_e32 v1, 0xaa, v1
	s_clause 0x1
	scratch_store_b32 off, v0, off offset:28
	scratch_store_b32 off, v1, off
	v_lshlrev_b32_e32 v0, 4, v1
	scratch_store_b32 off, v0, off offset:20 ; 4-byte Folded Spill
	v_or_b32_e32 v0, 0xa0, v177
	scratch_store_b32 off, v0, off offset:24 ; 4-byte Folded Spill
	s_and_saveexec_b32 s3, vcc_lo
	s_cbranch_execz .LBB0_3
; %bb.2:
	s_load_b64 s[4:5], s[0:1], 0x18
	v_or_b32_e32 v44, 0xa0, v177
	s_wait_kmcnt 0x0
	s_load_b128 s[4:7], s[4:5], 0x0
	s_wait_kmcnt 0x0
	v_mad_co_u64_u32 v[24:25], null, s6, v120, 0
	v_mad_co_u64_u32 v[40:41], null, s4, v177, 0
	v_mad_co_u64_u32 v[56:57], null, s4, v44, 0
	s_delay_alu instid0(VALU_DEP_2) | instskip(NEXT) | instid1(VALU_DEP_1)
	v_dual_mov_b32 v0, v25 :: v_dual_mov_b32 v1, v41
	v_mad_co_u64_u32 v[8:9], null, s7, v120, v[0:1]
	v_mad_co_u64_u32 v[26:27], null, s5, v177, v[1:2]
	s_mul_u64 s[6:7], s[4:5], 0xa0
	s_clause 0x1
	global_load_b128 v[0:3], v255, s[8:9]
	global_load_b128 v[4:7], v255, s[8:9] offset:160
	v_mov_b32_e32 v25, v8
	s_clause 0x3
	global_load_b128 v[8:11], v255, s[8:9] offset:320
	global_load_b128 v[12:15], v255, s[8:9] offset:480
	;; [unrolled: 1-line block ×4, first 2 shown]
	v_mov_b32_e32 v41, v26
	v_lshlrev_b64_e32 v[42:43], 4, v[24:25]
	s_clause 0x3
	global_load_b128 v[24:27], v255, s[8:9] offset:960
	global_load_b128 v[28:31], v255, s[8:9] offset:1120
	;; [unrolled: 1-line block ×4, first 2 shown]
	v_lshlrev_b64_e32 v[40:41], 4, v[40:41]
	v_add_co_u32 v62, s2, s10, v42
	s_delay_alu instid0(VALU_DEP_1) | instskip(SKIP_1) | instid1(VALU_DEP_3)
	v_add_co_ci_u32_e64 v63, s2, s11, v43, s2
	v_or_b32_e32 v42, 0x50, v177
	v_add_co_u32 v68, s2, v62, v40
	s_wait_alu 0xf1ff
	s_delay_alu instid0(VALU_DEP_3) | instskip(NEXT) | instid1(VALU_DEP_3)
	v_add_co_ci_u32_e64 v69, s2, v63, v41, s2
	v_mad_co_u64_u32 v[48:49], null, s4, v42, 0
	s_wait_alu 0xfffe
	v_add_co_u32 v72, s2, v68, s6
	s_wait_alu 0xf1ff
	v_add_co_ci_u32_e64 v73, s2, s7, v69, s2
	v_mov_b32_e32 v41, v57
	s_delay_alu instid0(VALU_DEP_3) | instskip(SKIP_1) | instid1(VALU_DEP_3)
	v_add_co_u32 v76, s2, v72, s6
	s_wait_alu 0xf1ff
	v_add_co_ci_u32_e64 v77, s2, s7, v73, s2
	v_mov_b32_e32 v40, v49
	s_delay_alu instid0(VALU_DEP_3) | instskip(SKIP_1) | instid1(VALU_DEP_3)
	v_add_co_u32 v80, s2, v76, s6
	s_wait_alu 0xf1ff
	v_add_co_ci_u32_e64 v81, s2, s7, v77, s2
	s_delay_alu instid0(VALU_DEP_3) | instskip(NEXT) | instid1(VALU_DEP_3)
	v_mad_co_u64_u32 v[42:43], null, s5, v42, v[40:41]
	v_add_co_u32 v84, s2, v80, s6
	s_wait_alu 0xf1ff
	s_delay_alu instid0(VALU_DEP_3) | instskip(NEXT) | instid1(VALU_DEP_2)
	v_add_co_ci_u32_e64 v85, s2, s7, v81, s2
	v_add_co_u32 v88, s2, v84, s6
	s_wait_alu 0xf1ff
	s_delay_alu instid0(VALU_DEP_2) | instskip(SKIP_1) | instid1(VALU_DEP_3)
	v_add_co_ci_u32_e64 v89, s2, s7, v85, s2
	v_mad_co_u64_u32 v[50:51], null, s5, v44, v[41:42]
	v_add_co_u32 v92, s2, v88, s6
	s_wait_alu 0xf1ff
	s_delay_alu instid0(VALU_DEP_3) | instskip(SKIP_1) | instid1(VALU_DEP_3)
	v_add_co_ci_u32_e64 v93, s2, s7, v89, s2
	v_mov_b32_e32 v49, v42
	v_add_co_u32 v96, s2, v92, s6
	s_wait_alu 0xf1ff
	s_delay_alu instid0(VALU_DEP_3)
	v_add_co_ci_u32_e64 v97, s2, s7, v93, s2
	v_mov_b32_e32 v57, v50
	v_lshlrev_b64_e32 v[58:59], 4, v[48:49]
	s_clause 0x1
	global_load_b128 v[40:43], v255, s[8:9] offset:1600
	global_load_b128 v[44:47], v255, s[8:9] offset:1760
	v_mad_co_u64_u32 v[100:101], null, 0x140, s4, v[96:97]
	v_lshlrev_b64_e32 v[56:57], 4, v[56:57]
	s_clause 0x1
	global_load_b128 v[48:51], v255, s[8:9] offset:1920
	global_load_b128 v[52:55], v255, s[8:9] offset:2080
	v_add_co_u32 v60, s2, v62, v58
	s_wait_alu 0xf1ff
	v_add_co_ci_u32_e64 v61, s2, v63, v59, s2
	v_mov_b32_e32 v64, v101
	v_add_co_u32 v65, s2, v62, v56
	s_wait_alu 0xf1ff
	v_add_co_ci_u32_e64 v66, s2, v63, v57, s2
	global_load_b128 v[56:59], v255, s[8:9] offset:2560
	global_load_b128 v[60:63], v[60:61], off
	v_mad_co_u64_u32 v[94:95], null, 0x140, s5, v[64:65]
	s_clause 0x5
	global_load_b128 v[64:67], v[65:66], off
	global_load_b128 v[68:71], v[68:69], off
	;; [unrolled: 1-line block ×8, first 2 shown]
	v_add_co_u32 v104, s2, v100, s6
	v_mov_b32_e32 v101, v94
	global_load_b128 v[92:95], v[92:93], off
	s_wait_alu 0xf1ff
	v_add_co_ci_u32_e64 v105, s2, s7, v101, s2
	v_add_co_u32 v108, s2, v104, s6
	global_load_b128 v[100:103], v[100:101], off
	s_wait_alu 0xf1ff
	v_add_co_ci_u32_e64 v109, s2, s7, v105, s2
	v_add_co_u32 v112, s2, v108, s6
	;; [unrolled: 4-line block ×5, first 2 shown]
	s_wait_alu 0xf1ff
	s_delay_alu instid0(VALU_DEP_2)
	v_add_co_ci_u32_e64 v134, s2, s7, v122, s2
	global_load_b128 v[116:119], v[116:117], off
	global_load_b128 v[121:124], v[121:122], off
	s_clause 0x1
	global_load_b128 v[125:128], v255, s[8:9] offset:2240
	global_load_b128 v[129:132], v255, s[8:9] offset:2400
	global_load_b128 v[133:136], v[133:134], off
	s_wait_loadcnt 0x10
	v_mul_f64_e32 v[137:138], v[70:71], v[2:3]
	v_mul_f64_e32 v[2:3], v[68:69], v[2:3]
	;; [unrolled: 1-line block ×4, first 2 shown]
	s_wait_loadcnt 0xf
	v_mul_f64_e32 v[143:144], v[74:75], v[6:7]
	v_mul_f64_e32 v[145:146], v[72:73], v[6:7]
	s_wait_loadcnt 0xa
	v_mul_f64_e32 v[157:158], v[98:99], v[30:31]
	v_mul_f64_e32 v[159:160], v[96:97], v[30:31]
	;; [unrolled: 1-line block ×10, first 2 shown]
	s_wait_loadcnt 0x9
	v_mul_f64_e32 v[155:156], v[94:95], v[26:27]
	v_mul_f64_e32 v[26:27], v[92:93], v[26:27]
	;; [unrolled: 1-line block ×4, first 2 shown]
	s_wait_loadcnt 0x8
	v_mul_f64_e32 v[161:162], v[102:103], v[38:39]
	v_mul_f64_e32 v[38:39], v[100:101], v[38:39]
	s_wait_loadcnt 0x7
	v_mul_f64_e32 v[163:164], v[106:107], v[42:43]
	v_mul_f64_e32 v[42:43], v[104:105], v[42:43]
	;; [unrolled: 3-line block ×4, first 2 shown]
	v_fma_f64 v[68:69], v[68:69], v[0:1], v[137:138]
	v_fma_f64 v[70:71], v[70:71], v[0:1], -v[2:3]
	v_fma_f64 v[0:1], v[60:61], v[32:33], v[139:140]
	v_fma_f64 v[2:3], v[62:63], v[32:33], -v[34:35]
	v_fma_f64 v[30:31], v[72:73], v[4:5], v[143:144]
	v_fma_f64 v[32:33], v[74:75], v[4:5], -v[145:146]
	scratch_load_b32 v4, off, off           ; 4-byte Folded Reload
	s_wait_loadcnt 0x5
	v_mul_f64_e32 v[169:170], v[118:119], v[54:55]
	v_mul_f64_e32 v[54:55], v[116:117], v[54:55]
	s_wait_loadcnt 0x3
	v_mul_f64_e32 v[171:172], v[123:124], v[127:128]
	v_mul_f64_e32 v[127:128], v[121:122], v[127:128]
	;; [unrolled: 3-line block ×3, first 2 shown]
	v_fma_f64 v[58:59], v[76:77], v[8:9], v[147:148]
	v_fma_f64 v[60:61], v[78:79], v[8:9], -v[10:11]
	v_fma_f64 v[10:11], v[80:81], v[12:13], v[149:150]
	v_fma_f64 v[12:13], v[82:83], v[12:13], -v[14:15]
	;; [unrolled: 2-line block ×8, first 2 shown]
	v_fma_f64 v[6:7], v[64:65], v[56:57], v[141:142]
	v_fma_f64 v[42:43], v[108:109], v[44:45], v[165:166]
	v_fma_f64 v[44:45], v[110:111], v[44:45], -v[46:47]
	v_fma_f64 v[8:9], v[66:67], v[56:57], -v[175:176]
	v_fma_f64 v[46:47], v[112:113], v[48:49], v[167:168]
	v_fma_f64 v[48:49], v[114:115], v[48:49], -v[50:51]
	v_fma_f64 v[50:51], v[116:117], v[52:53], v[169:170]
	;; [unrolled: 2-line block ×4, first 2 shown]
	v_fma_f64 v[74:75], v[135:136], v[129:130], -v[131:132]
	s_wait_loadcnt 0x0
	v_lshlrev_b32_e32 v5, 4, v4
	s_delay_alu instid0(VALU_DEP_1)
	v_lshl_add_u32 v4, v177, 4, v5
	v_add_nc_u32_e32 v5, v5, v255
	ds_store_b128 v4, v[68:71]
	ds_store_b128 v5, v[30:33] offset:160
	ds_store_b128 v5, v[58:61] offset:320
	;; [unrolled: 1-line block ×16, first 2 shown]
.LBB0_3:
	s_or_b32 exec_lo, exec_lo, s3
	s_load_b64 s[2:3], s[0:1], 0x20
	scratch_store_b32 off, v177, off offset:16 ; 4-byte Folded Spill
	global_wb scope:SCOPE_SE
	s_wait_storecnt_dscnt 0x0
	s_wait_kmcnt 0x0
	s_barrier_signal -1
	s_barrier_wait -1
	global_inv scope:SCOPE_SE
                                        ; implicit-def: $vgpr28_vgpr29
                                        ; implicit-def: $vgpr48_vgpr49
                                        ; implicit-def: $vgpr52_vgpr53
                                        ; implicit-def: $vgpr56_vgpr57
                                        ; implicit-def: $vgpr60_vgpr61
                                        ; implicit-def: $vgpr64_vgpr65
                                        ; implicit-def: $vgpr68_vgpr69
                                        ; implicit-def: $vgpr72_vgpr73
                                        ; implicit-def: $vgpr80_vgpr81
                                        ; implicit-def: $vgpr84_vgpr85
                                        ; implicit-def: $vgpr88_vgpr89
                                        ; implicit-def: $vgpr92_vgpr93
                                        ; implicit-def: $vgpr76_vgpr77
                                        ; implicit-def: $vgpr44_vgpr45
                                        ; implicit-def: $vgpr40_vgpr41
                                        ; implicit-def: $vgpr36_vgpr37
                                        ; implicit-def: $vgpr32_vgpr33
	s_and_saveexec_b32 s4, vcc_lo
	s_cbranch_execz .LBB0_5
; %bb.4:
	scratch_load_b32 v0, off, off           ; 4-byte Folded Reload
	s_wait_loadcnt 0x0
	v_lshl_add_u32 v0, v0, 4, v255
	ds_load_b128 v[28:31], v0
	ds_load_b128 v[48:51], v0 offset:160
	ds_load_b128 v[52:55], v0 offset:320
	;; [unrolled: 1-line block ×16, first 2 shown]
.LBB0_5:
	s_wait_alu 0xfffe
	s_or_b32 exec_lo, exec_lo, s4
	s_wait_dscnt 0x0
	v_add_f64_e64 v[129:130], v[50:51], -v[34:35]
	v_add_f64_e64 v[143:144], v[54:55], -v[38:39]
	s_mov_b32 s10, 0x5d8e7cdc
	s_mov_b32 s18, 0x2a9d6da3
	;; [unrolled: 1-line block ×4, first 2 shown]
	v_add_f64_e32 v[125:126], v[48:49], v[32:33]
	v_add_f64_e64 v[157:158], v[52:53], -v[36:37]
	s_mov_b32 s4, 0x370991
	s_mov_b32 s38, 0x4363dd80
	;; [unrolled: 1-line block ×6, first 2 shown]
	v_add_f64_e32 v[96:97], v[52:53], v[36:37]
	s_mov_b32 s6, 0x75d4884
	s_mov_b32 s7, 0x3fe7a5f6
	v_add_f64_e64 v[171:172], v[48:49], -v[32:33]
	v_add_f64_e32 v[165:166], v[50:51], v[34:35]
	v_add_f64_e32 v[100:101], v[54:55], v[38:39]
	v_add_f64_e64 v[163:164], v[58:59], -v[42:43]
	s_mov_b32 s28, 0x7c9e640b
	s_mov_b32 s29, 0xbfeca52d
	v_add_f64_e32 v[104:105], v[56:57], v[40:41]
	s_mov_b32 s14, 0x2b2883cd
	s_mov_b32 s30, 0xeb564b22
	;; [unrolled: 1-line block ×4, first 2 shown]
	v_add_f64_e64 v[169:170], v[56:57], -v[40:41]
	v_add_f64_e32 v[112:113], v[58:59], v[42:43]
	s_mov_b32 s36, 0x6c9a05f6
	s_mov_b32 s37, 0xbfe9895b
	v_add_f64_e64 v[173:174], v[62:63], -v[46:47]
	v_add_f64_e32 v[108:109], v[60:61], v[44:45]
	s_mov_b32 s16, 0x3259b75e
	s_mov_b32 s17, 0x3fb79ee6
	v_add_f64_e64 v[175:176], v[60:61], -v[44:45]
	v_add_f64_e32 v[121:122], v[62:63], v[46:47]
	s_wait_alu 0xfffe
	v_mul_f64_e32 v[0:1], s[10:11], v[129:130]
	v_mul_f64_e32 v[2:3], s[18:19], v[143:144]
	;; [unrolled: 1-line block ×5, first 2 shown]
	s_mov_b32 s42, 0xacd6c6b4
	s_mov_b32 s43, 0xbfc7851a
	v_mul_f64_e32 v[4:5], s[18:19], v[157:158]
	v_mul_f64_e32 v[8:9], s[30:31], v[157:158]
	v_add_f64_e64 v[177:178], v[66:67], -v[78:79]
	v_mul_f64_e32 v[14:15], s[42:43], v[143:144]
	s_mov_b32 s34, 0x923c349f
	s_mov_b32 s35, 0xbfeec746
	v_add_f64_e32 v[116:117], v[64:65], v[76:77]
	s_mov_b32 s20, 0xc61f0d01
	s_mov_b32 s21, 0xbfd183b1
	v_add_f64_e64 v[179:180], v[64:65], -v[76:77]
	v_mul_f64_e32 v[12:13], s[36:37], v[157:158]
	v_add_f64_e32 v[135:136], v[66:67], v[78:79]
	s_mov_b32 s45, 0x3feec746
	s_mov_b32 s44, s34
	v_add_f64_e64 v[181:182], v[70:71], -v[94:95]
	v_mul_f64_e32 v[22:23], s[44:45], v[143:144]
	;; [unrolled: 5-line block ×5, first 2 shown]
	v_add_f64_e32 v[153:154], v[74:75], v[90:91]
	s_clause 0x2
	scratch_store_b64 off, v[2:3], off offset:32
	scratch_store_b64 off, v[0:1], off offset:112
	;; [unrolled: 1-line block ×3, first 2 shown]
	v_fma_f64 v[0:1], v[125:126], s[4:5], v[0:1]
	v_fma_f64 v[2:3], v[96:97], s[6:7], v[2:3]
	v_add_f64_e64 v[203:204], v[82:83], -v[86:87]
	scratch_store_b64 off, v[4:5], off offset:48 ; 8-byte Folded Spill
	v_fma_f64 v[4:5], v[100:101], s[6:7], -v[4:5]
	v_add_f64_e32 v[149:150], v[80:81], v[84:85]
	s_mov_b32 s26, 0x7faef3
	s_mov_b32 s27, 0xbfef7484
	v_add_f64_e64 v[209:210], v[80:81], -v[84:85]
	v_mul_f64_e32 v[24:25], s[44:45], v[157:158]
	v_add_f64_e32 v[159:160], v[82:83], v[86:87]
	v_mul_f64_e32 v[114:115], s[18:19], v[129:130]
	v_mul_f64_e32 v[127:128], s[18:19], v[171:172]
	s_mov_b32 s47, 0x3fd71e95
	s_mov_b32 s46, s10
	v_mul_f64_e32 v[133:134], s[28:29], v[129:130]
	v_mul_f64_e32 v[137:138], s[28:29], v[171:172]
	s_mov_b32 s53, 0x3fc7851a
	s_mov_b32 s52, s42
	;; [unrolled: 1-line block ×4, first 2 shown]
	v_mul_f64_e32 v[141:142], s[30:31], v[129:130]
	v_mul_f64_e32 v[217:218], s[10:11], v[183:184]
	;; [unrolled: 1-line block ×6, first 2 shown]
	s_mov_b32 s55, 0x3fe9895b
	s_mov_b32 s54, s36
	v_mul_f64_e32 v[151:152], s[34:35], v[129:130]
	v_fma_f64 v[18:19], v[96:97], s[24:25], v[18:19]
	v_mul_f64_e32 v[155:156], s[34:35], v[171:172]
	v_mul_f64_e32 v[215:216], s[28:29], v[175:176]
	;; [unrolled: 1-line block ×4, first 2 shown]
	s_mov_b32 s57, 0x3fefdd0d
	s_mov_b32 s56, s30
	v_mul_f64_e32 v[219:220], s[10:11], v[191:192]
	v_add_f64_e32 v[0:1], v[28:29], v[0:1]
	v_mul_f64_e32 v[227:228], s[56:57], v[181:182]
	v_mul_f64_e32 v[102:103], s[56:57], v[183:184]
	;; [unrolled: 1-line block ×27, first 2 shown]
	s_load_b64 s[0:1], s[0:1], 0x8
	scratch_store_b64 off, v[6:7], off offset:192 ; 8-byte Folded Spill
	v_fma_f64 v[6:7], v[96:97], s[16:17], v[6:7]
	scratch_store_b64 off, v[8:9], off offset:216 ; 8-byte Folded Spill
	v_fma_f64 v[8:9], v[100:101], s[16:17], -v[8:9]
	scratch_store_b64 off, v[14:15], off offset:320 ; 8-byte Folded Spill
	v_fma_f64 v[14:15], v[96:97], s[26:27], v[14:15]
	scratch_store_b64 off, v[10:11], off offset:256 ; 8-byte Folded Spill
	v_fma_f64 v[10:11], v[96:97], s[22:23], v[10:11]
	scratch_store_b64 off, v[12:13], off offset:312 ; 8-byte Folded Spill
	v_add_f64_e32 v[0:1], v[2:3], v[0:1]
	v_mul_f64_e32 v[2:3], s[10:11], v[171:172]
	v_fma_f64 v[12:13], v[100:101], s[22:23], -v[12:13]
	scratch_store_b64 off, v[16:17], off offset:384 ; 8-byte Folded Spill
	v_fma_f64 v[16:17], v[100:101], s[26:27], -v[16:17]
	scratch_store_b64 off, v[20:21], off offset:472 ; 8-byte Folded Spill
	;; [unrolled: 2-line block ×3, first 2 shown]
	v_fma_f64 v[22:23], v[96:97], s[20:21], v[22:23]
	scratch_store_b64 off, v[24:25], off offset:576 ; 8-byte Folded Spill
	v_fma_f64 v[24:25], v[100:101], s[20:21], -v[24:25]
	scratch_store_b64 off, v[26:27], off offset:504 ; 8-byte Folded Spill
	v_fma_f64 v[26:27], v[96:97], s[14:15], v[26:27]
	v_fma_f64 v[98:99], v[100:101], s[14:15], -v[213:214]
	scratch_store_b64 off, v[2:3], off offset:184 ; 8-byte Folded Spill
	v_fma_f64 v[2:3], v[165:166], s[4:5], -v[2:3]
	s_delay_alu instid0(VALU_DEP_1) | instskip(NEXT) | instid1(VALU_DEP_1)
	v_add_f64_e32 v[2:3], v[30:31], v[2:3]
	v_add_f64_e32 v[2:3], v[4:5], v[2:3]
	v_mul_f64_e32 v[4:5], s[28:29], v[163:164]
	scratch_store_b64 off, v[4:5], off offset:64 ; 8-byte Folded Spill
	v_fma_f64 v[4:5], v[104:105], s[14:15], v[4:5]
	s_delay_alu instid0(VALU_DEP_1) | instskip(SKIP_3) | instid1(VALU_DEP_1)
	v_add_f64_e32 v[0:1], v[4:5], v[0:1]
	v_mul_f64_e32 v[4:5], s[28:29], v[169:170]
	scratch_store_b64 off, v[4:5], off offset:80 ; 8-byte Folded Spill
	v_fma_f64 v[4:5], v[112:113], s[14:15], -v[4:5]
	v_add_f64_e32 v[2:3], v[4:5], v[2:3]
	v_mul_f64_e32 v[4:5], s[30:31], v[173:174]
	scratch_store_b64 off, v[4:5], off offset:72 ; 8-byte Folded Spill
	v_fma_f64 v[4:5], v[108:109], s[16:17], v[4:5]
	s_delay_alu instid0(VALU_DEP_1) | instskip(SKIP_3) | instid1(VALU_DEP_1)
	v_add_f64_e32 v[0:1], v[4:5], v[0:1]
	v_mul_f64_e32 v[4:5], s[30:31], v[175:176]
	scratch_store_b64 off, v[4:5], off offset:96 ; 8-byte Folded Spill
	v_fma_f64 v[4:5], v[121:122], s[16:17], -v[4:5]
	;; [unrolled: 9-line block ×6, first 2 shown]
	v_add_f64_e32 v[2:3], v[4:5], v[2:3]
	v_fma_f64 v[4:5], v[125:126], s[6:7], v[114:115]
	s_delay_alu instid0(VALU_DEP_1) | instskip(NEXT) | instid1(VALU_DEP_1)
	v_add_f64_e32 v[4:5], v[28:29], v[4:5]
	v_add_f64_e32 v[4:5], v[6:7], v[4:5]
	v_fma_f64 v[6:7], v[165:166], s[6:7], -v[127:128]
	s_delay_alu instid0(VALU_DEP_1) | instskip(NEXT) | instid1(VALU_DEP_1)
	v_add_f64_e32 v[6:7], v[30:31], v[6:7]
	v_add_f64_e32 v[6:7], v[8:9], v[6:7]
	v_mul_f64_e32 v[8:9], s[36:37], v[163:164]
	scratch_store_b64 off, v[8:9], off offset:200 ; 8-byte Folded Spill
	v_fma_f64 v[8:9], v[104:105], s[22:23], v[8:9]
	s_delay_alu instid0(VALU_DEP_1) | instskip(SKIP_3) | instid1(VALU_DEP_1)
	v_add_f64_e32 v[4:5], v[8:9], v[4:5]
	v_mul_f64_e32 v[8:9], s[36:37], v[169:170]
	scratch_store_b64 off, v[8:9], off offset:224 ; 8-byte Folded Spill
	v_fma_f64 v[8:9], v[112:113], s[22:23], -v[8:9]
	v_add_f64_e32 v[6:7], v[8:9], v[6:7]
	v_mul_f64_e32 v[8:9], s[42:43], v[173:174]
	scratch_store_b64 off, v[8:9], off offset:208 ; 8-byte Folded Spill
	v_fma_f64 v[8:9], v[108:109], s[26:27], v[8:9]
	s_delay_alu instid0(VALU_DEP_1) | instskip(SKIP_3) | instid1(VALU_DEP_1)
	v_add_f64_e32 v[4:5], v[8:9], v[4:5]
	v_mul_f64_e32 v[8:9], s[42:43], v[175:176]
	scratch_store_b64 off, v[8:9], off offset:248 ; 8-byte Folded Spill
	v_fma_f64 v[8:9], v[121:122], s[26:27], -v[8:9]
	;; [unrolled: 9-line block ×6, first 2 shown]
	v_add_f64_e32 v[6:7], v[8:9], v[6:7]
	v_fma_f64 v[8:9], v[125:126], s[14:15], v[133:134]
	s_delay_alu instid0(VALU_DEP_1) | instskip(NEXT) | instid1(VALU_DEP_1)
	v_add_f64_e32 v[8:9], v[28:29], v[8:9]
	v_add_f64_e32 v[8:9], v[10:11], v[8:9]
	v_fma_f64 v[10:11], v[165:166], s[14:15], -v[137:138]
	s_delay_alu instid0(VALU_DEP_1) | instskip(NEXT) | instid1(VALU_DEP_1)
	v_add_f64_e32 v[10:11], v[30:31], v[10:11]
	v_add_f64_e32 v[10:11], v[12:13], v[10:11]
	v_mul_f64_e32 v[12:13], s[52:53], v[163:164]
	scratch_store_b64 off, v[12:13], off offset:280 ; 8-byte Folded Spill
	v_fma_f64 v[12:13], v[104:105], s[26:27], v[12:13]
	s_delay_alu instid0(VALU_DEP_1) | instskip(SKIP_3) | instid1(VALU_DEP_1)
	v_add_f64_e32 v[8:9], v[12:13], v[8:9]
	v_mul_f64_e32 v[12:13], s[52:53], v[169:170]
	scratch_store_b64 off, v[12:13], off offset:344 ; 8-byte Folded Spill
	v_fma_f64 v[12:13], v[112:113], s[26:27], -v[12:13]
	v_add_f64_e32 v[10:11], v[12:13], v[10:11]
	v_mul_f64_e32 v[12:13], s[44:45], v[173:174]
	scratch_store_b64 off, v[12:13], off offset:304 ; 8-byte Folded Spill
	v_fma_f64 v[12:13], v[108:109], s[20:21], v[12:13]
	s_delay_alu instid0(VALU_DEP_1) | instskip(SKIP_3) | instid1(VALU_DEP_1)
	v_add_f64_e32 v[8:9], v[12:13], v[8:9]
	v_mul_f64_e32 v[12:13], s[44:45], v[175:176]
	scratch_store_b64 off, v[12:13], off offset:408 ; 8-byte Folded Spill
	v_fma_f64 v[12:13], v[121:122], s[20:21], -v[12:13]
	;; [unrolled: 9-line block ×3, first 2 shown]
	v_add_f64_e32 v[10:11], v[12:13], v[10:11]
	v_mul_f64_e32 v[12:13], s[10:11], v[181:182]
	scratch_store_b64 off, v[12:13], off offset:496 ; 8-byte Folded Spill
	v_fma_f64 v[12:13], v[131:132], s[4:5], v[12:13]
	s_delay_alu instid0(VALU_DEP_1) | instskip(SKIP_1) | instid1(VALU_DEP_1)
	v_add_f64_e32 v[8:9], v[12:13], v[8:9]
	v_fma_f64 v[12:13], v[145:146], s[4:5], -v[217:218]
	v_add_f64_e32 v[10:11], v[12:13], v[10:11]
	v_mul_f64_e32 v[12:13], s[30:31], v[185:186]
	scratch_store_b64 off, v[12:13], off offset:392 ; 8-byte Folded Spill
	v_fma_f64 v[12:13], v[139:140], s[16:17], v[12:13]
	s_delay_alu instid0(VALU_DEP_1) | instskip(SKIP_3) | instid1(VALU_DEP_1)
	v_add_f64_e32 v[8:9], v[12:13], v[8:9]
	v_mul_f64_e32 v[12:13], s[30:31], v[191:192]
	scratch_store_b64 off, v[12:13], off offset:448 ; 8-byte Folded Spill
	v_fma_f64 v[12:13], v[153:154], s[16:17], -v[12:13]
	v_add_f64_e32 v[10:11], v[12:13], v[10:11]
	v_mul_f64_e32 v[12:13], s[38:39], v[203:204]
	scratch_store_b64 off, v[12:13], off offset:376 ; 8-byte Folded Spill
	v_fma_f64 v[12:13], v[149:150], s[24:25], v[12:13]
	s_delay_alu instid0(VALU_DEP_1) | instskip(SKIP_3) | instid1(VALU_DEP_1)
	v_add_f64_e32 v[8:9], v[12:13], v[8:9]
	v_mul_f64_e32 v[12:13], s[38:39], v[209:210]
	scratch_store_b64 off, v[12:13], off offset:440 ; 8-byte Folded Spill
	v_fma_f64 v[12:13], v[159:160], s[24:25], -v[12:13]
	v_add_f64_e32 v[10:11], v[12:13], v[10:11]
	v_fma_f64 v[12:13], v[125:126], s[16:17], v[141:142]
	s_delay_alu instid0(VALU_DEP_1) | instskip(NEXT) | instid1(VALU_DEP_1)
	v_add_f64_e32 v[12:13], v[28:29], v[12:13]
	v_add_f64_e32 v[12:13], v[14:15], v[12:13]
	v_fma_f64 v[14:15], v[165:166], s[16:17], -v[147:148]
	s_delay_alu instid0(VALU_DEP_1) | instskip(NEXT) | instid1(VALU_DEP_1)
	v_add_f64_e32 v[14:15], v[30:31], v[14:15]
	v_add_f64_e32 v[14:15], v[16:17], v[14:15]
	v_mul_f64_e32 v[16:17], s[44:45], v[163:164]
	scratch_store_b64 off, v[16:17], off offset:352 ; 8-byte Folded Spill
	v_fma_f64 v[16:17], v[104:105], s[20:21], v[16:17]
	s_delay_alu instid0(VALU_DEP_1) | instskip(SKIP_3) | instid1(VALU_DEP_1)
	v_add_f64_e32 v[12:13], v[16:17], v[12:13]
	v_mul_f64_e32 v[16:17], s[44:45], v[169:170]
	scratch_store_b64 off, v[16:17], off offset:464 ; 8-byte Folded Spill
	v_fma_f64 v[16:17], v[112:113], s[20:21], -v[16:17]
	v_add_f64_e32 v[14:15], v[16:17], v[14:15]
	v_mul_f64_e32 v[16:17], s[46:47], v[173:174]
	scratch_store_b64 off, v[16:17], off offset:368 ; 8-byte Folded Spill
	v_fma_f64 v[16:17], v[108:109], s[4:5], v[16:17]
	s_delay_alu instid0(VALU_DEP_1) | instskip(SKIP_3) | instid1(VALU_DEP_1)
	v_add_f64_e32 v[12:13], v[16:17], v[12:13]
	v_mul_f64_e32 v[16:17], s[46:47], v[175:176]
	scratch_store_b64 off, v[16:17], off offset:544 ; 8-byte Folded Spill
	v_fma_f64 v[16:17], v[121:122], s[4:5], -v[16:17]
	v_add_f64_e32 v[14:15], v[16:17], v[14:15]
	v_mul_f64_e32 v[16:17], s[28:29], v[177:178]
	scratch_store_b64 off, v[16:17], off offset:488 ; 8-byte Folded Spill
	v_fma_f64 v[16:17], v[116:117], s[14:15], v[16:17]
	s_delay_alu instid0(VALU_DEP_1) | instskip(SKIP_1) | instid1(VALU_DEP_1)
	v_add_f64_e32 v[12:13], v[16:17], v[12:13]
	v_fma_f64 v[16:17], v[135:136], s[14:15], -v[207:208]
	v_add_f64_e32 v[14:15], v[16:17], v[14:15]
	v_fma_f64 v[16:17], v[131:132], s[24:25], v[195:196]
	s_delay_alu instid0(VALU_DEP_1) | instskip(SKIP_1) | instid1(VALU_DEP_1)
	v_add_f64_e32 v[12:13], v[16:17], v[12:13]
	v_fma_f64 v[16:17], v[145:146], s[24:25], -v[233:234]
	v_add_f64_e32 v[14:15], v[16:17], v[14:15]
	v_mul_f64_e32 v[16:17], s[54:55], v[185:186]
	scratch_store_b64 off, v[16:17], off offset:480 ; 8-byte Folded Spill
	v_fma_f64 v[16:17], v[139:140], s[22:23], v[16:17]
	s_delay_alu instid0(VALU_DEP_1) | instskip(SKIP_3) | instid1(VALU_DEP_1)
	v_add_f64_e32 v[12:13], v[16:17], v[12:13]
	v_mul_f64_e32 v[16:17], s[54:55], v[191:192]
	scratch_store_b64 off, v[16:17], off offset:552 ; 8-byte Folded Spill
	v_fma_f64 v[16:17], v[153:154], s[22:23], -v[16:17]
	v_add_f64_e32 v[14:15], v[16:17], v[14:15]
	v_mul_f64_e32 v[16:17], s[50:51], v[203:204]
	scratch_store_b64 off, v[16:17], off offset:456 ; 8-byte Folded Spill
	v_fma_f64 v[16:17], v[149:150], s[6:7], v[16:17]
	s_delay_alu instid0(VALU_DEP_1) | instskip(SKIP_3) | instid1(VALU_DEP_1)
	v_add_f64_e32 v[12:13], v[16:17], v[12:13]
	v_mul_f64_e32 v[16:17], s[50:51], v[209:210]
	scratch_store_b64 off, v[16:17], off offset:536 ; 8-byte Folded Spill
	v_fma_f64 v[16:17], v[159:160], s[6:7], -v[16:17]
	v_add_f64_e32 v[14:15], v[16:17], v[14:15]
	v_fma_f64 v[16:17], v[125:126], s[20:21], v[151:152]
	s_delay_alu instid0(VALU_DEP_1) | instskip(NEXT) | instid1(VALU_DEP_1)
	v_add_f64_e32 v[16:17], v[28:29], v[16:17]
	v_add_f64_e32 v[16:17], v[18:19], v[16:17]
	v_fma_f64 v[18:19], v[165:166], s[20:21], -v[155:156]
	s_delay_alu instid0(VALU_DEP_1) | instskip(NEXT) | instid1(VALU_DEP_1)
	v_add_f64_e32 v[18:19], v[30:31], v[18:19]
	v_add_f64_e32 v[18:19], v[20:21], v[18:19]
	v_mul_f64_e32 v[20:21], s[50:51], v[163:164]
	scratch_store_b64 off, v[20:21], off offset:416 ; 8-byte Folded Spill
	v_fma_f64 v[20:21], v[104:105], s[6:7], v[20:21]
	s_delay_alu instid0(VALU_DEP_1) | instskip(SKIP_3) | instid1(VALU_DEP_1)
	v_add_f64_e32 v[16:17], v[20:21], v[16:17]
	v_mul_f64_e32 v[20:21], s[50:51], v[169:170]
	scratch_store_b64 off, v[20:21], off offset:568 ; 8-byte Folded Spill
	v_fma_f64 v[20:21], v[112:113], s[6:7], -v[20:21]
	v_add_f64_e32 v[18:19], v[20:21], v[18:19]
	v_mul_f64_e32 v[20:21], s[28:29], v[173:174]
	scratch_store_b64 off, v[20:21], off offset:432 ; 8-byte Folded Spill
	v_fma_f64 v[20:21], v[108:109], s[14:15], v[20:21]
	s_delay_alu instid0(VALU_DEP_1) | instskip(SKIP_1) | instid1(VALU_DEP_1)
	v_add_f64_e32 v[16:17], v[20:21], v[16:17]
	v_fma_f64 v[20:21], v[121:122], s[14:15], -v[215:216]
	v_add_f64_e32 v[18:19], v[20:21], v[18:19]
	v_fma_f64 v[20:21], v[116:117], s[26:27], v[199:200]
	s_delay_alu instid0(VALU_DEP_1) | instskip(SKIP_1) | instid1(VALU_DEP_1)
	v_add_f64_e32 v[16:17], v[20:21], v[16:17]
	v_fma_f64 v[20:21], v[135:136], s[26:27], -v[241:242]
	v_add_f64_e32 v[18:19], v[20:21], v[18:19]
	;; [unrolled: 5-line block ×3, first 2 shown]
	v_mul_f64_e32 v[20:21], s[10:11], v[185:186]
	scratch_store_b64 off, v[20:21], off offset:584 ; 8-byte Folded Spill
	v_fma_f64 v[20:21], v[139:140], s[4:5], v[20:21]
	s_delay_alu instid0(VALU_DEP_1) | instskip(SKIP_1) | instid1(VALU_DEP_1)
	v_add_f64_e32 v[16:17], v[20:21], v[16:17]
	v_fma_f64 v[20:21], v[153:154], s[4:5], -v[219:220]
	v_add_f64_e32 v[18:19], v[20:21], v[18:19]
	v_mul_f64_e32 v[20:21], s[36:37], v[203:204]
	scratch_store_b64 off, v[20:21], off offset:560 ; 8-byte Folded Spill
	v_fma_f64 v[20:21], v[149:150], s[22:23], v[20:21]
	s_delay_alu instid0(VALU_DEP_1) | instskip(SKIP_1) | instid1(VALU_DEP_1)
	v_add_f64_e32 v[16:17], v[20:21], v[16:17]
	v_fma_f64 v[20:21], v[159:160], s[22:23], -v[211:212]
	v_add_f64_e32 v[18:19], v[20:21], v[18:19]
	v_fma_f64 v[20:21], v[125:126], s[22:23], v[161:162]
	s_delay_alu instid0(VALU_DEP_1) | instskip(NEXT) | instid1(VALU_DEP_1)
	v_add_f64_e32 v[20:21], v[28:29], v[20:21]
	v_add_f64_e32 v[20:21], v[22:23], v[20:21]
	v_fma_f64 v[22:23], v[165:166], s[22:23], -v[167:168]
	s_delay_alu instid0(VALU_DEP_1) | instskip(NEXT) | instid1(VALU_DEP_1)
	v_add_f64_e32 v[22:23], v[30:31], v[22:23]
	v_add_f64_e32 v[22:23], v[24:25], v[22:23]
	v_mul_f64_e32 v[24:25], s[10:11], v[163:164]
	scratch_store_b64 off, v[24:25], off offset:512 ; 8-byte Folded Spill
	v_fma_f64 v[24:25], v[104:105], s[4:5], v[24:25]
	s_delay_alu instid0(VALU_DEP_1) | instskip(SKIP_1) | instid1(VALU_DEP_1)
	v_add_f64_e32 v[20:21], v[24:25], v[20:21]
	v_fma_f64 v[24:25], v[112:113], s[4:5], -v[223:224]
	v_add_f64_e32 v[22:23], v[24:25], v[22:23]
	v_mul_f64_e32 v[24:25], s[38:39], v[173:174]
	scratch_store_b64 off, v[24:25], off offset:520 ; 8-byte Folded Spill
	v_fma_f64 v[24:25], v[108:109], s[24:25], v[24:25]
	global_wb scope:SCOPE_SE
	s_wait_storecnt 0x0
	s_wait_kmcnt 0x0
	s_barrier_signal -1
	s_barrier_wait -1
	global_inv scope:SCOPE_SE
	v_add_f64_e32 v[20:21], v[24:25], v[20:21]
	v_fma_f64 v[24:25], v[121:122], s[24:25], -v[243:244]
	s_delay_alu instid0(VALU_DEP_1) | instskip(SKIP_1) | instid1(VALU_DEP_1)
	v_add_f64_e32 v[22:23], v[24:25], v[22:23]
	v_fma_f64 v[24:25], v[116:117], s[16:17], v[225:226]
	v_add_f64_e32 v[20:21], v[24:25], v[20:21]
	v_fma_f64 v[24:25], v[135:136], s[16:17], -v[253:254]
	s_delay_alu instid0(VALU_DEP_1) | instskip(SKIP_1) | instid1(VALU_DEP_1)
	v_add_f64_e32 v[22:23], v[24:25], v[22:23]
	v_fma_f64 v[24:25], v[131:132], s[6:7], v[247:248]
	;; [unrolled: 5-line block ×5, first 2 shown]
	v_add_f64_e32 v[24:25], v[28:29], v[24:25]
	s_delay_alu instid0(VALU_DEP_1) | instskip(SKIP_1) | instid1(VALU_DEP_1)
	v_add_f64_e32 v[24:25], v[26:27], v[24:25]
	v_fma_f64 v[26:27], v[165:166], s[24:25], -v[189:190]
	v_add_f64_e32 v[26:27], v[30:31], v[26:27]
	s_delay_alu instid0(VALU_DEP_1) | instskip(SKIP_1) | instid1(VALU_DEP_1)
	v_add_f64_e32 v[26:27], v[98:99], v[26:27]
	v_fma_f64 v[98:99], v[104:105], s[16:17], v[197:198]
	v_add_f64_e32 v[24:25], v[98:99], v[24:25]
	v_fma_f64 v[98:99], v[112:113], s[16:17], -v[239:240]
	s_delay_alu instid0(VALU_DEP_1) | instskip(SKIP_1) | instid1(VALU_DEP_1)
	v_add_f64_e32 v[26:27], v[98:99], v[26:27]
	v_fma_f64 v[98:99], v[108:109], s[22:23], v[201:202]
	v_add_f64_e32 v[24:25], v[98:99], v[24:25]
	v_fma_f64 v[98:99], v[121:122], s[22:23], -v[251:252]
	;; [unrolled: 5-line block ×4, first 2 shown]
	s_delay_alu instid0(VALU_DEP_1) | instskip(SKIP_1) | instid1(VALU_DEP_1)
	v_add_f64_e32 v[26:27], v[98:99], v[26:27]
	v_fma_f64 v[98:99], v[139:140], s[6:7], v[237:238]
	v_add_f64_e32 v[24:25], v[98:99], v[24:25]
	v_mul_f64_e32 v[98:99], s[50:51], v[191:192]
	s_delay_alu instid0(VALU_DEP_1) | instskip(NEXT) | instid1(VALU_DEP_1)
	v_fma_f64 v[229:230], v[153:154], s[6:7], -v[98:99]
	v_add_f64_e32 v[26:27], v[229:230], v[26:27]
	v_mul_f64_e32 v[229:230], s[34:35], v[203:204]
	s_delay_alu instid0(VALU_DEP_1) | instskip(NEXT) | instid1(VALU_DEP_1)
	v_fma_f64 v[249:250], v[149:150], s[20:21], v[229:230]
	v_add_f64_e32 v[24:25], v[249:250], v[24:25]
	v_mul_f64_e32 v[249:250], s[34:35], v[209:210]
	s_delay_alu instid0(VALU_DEP_1) | instskip(NEXT) | instid1(VALU_DEP_1)
	v_fma_f64 v[193:194], v[159:160], s[20:21], -v[249:250]
	v_add_f64_e32 v[26:27], v[193:194], v[26:27]
	scratch_load_b32 v193, off, off offset:16 ; 4-byte Folded Reload
	s_wait_loadcnt 0x0
	v_mul_lo_u16 v194, v193, 17
	s_and_saveexec_b32 s33, vcc_lo
	s_cbranch_execz .LBB0_7
; %bb.6:
	v_add_f64_e32 v[48:49], v[28:29], v[48:49]
	v_add_f64_e32 v[50:51], v[30:31], v[50:51]
	s_delay_alu instid0(VALU_DEP_2) | instskip(NEXT) | instid1(VALU_DEP_2)
	v_add_f64_e32 v[48:49], v[48:49], v[52:53]
	v_add_f64_e32 v[50:51], v[50:51], v[54:55]
	v_mul_f64_e32 v[52:53], s[16:17], v[165:166]
	v_mul_f64_e32 v[54:55], s[16:17], v[125:126]
	s_delay_alu instid0(VALU_DEP_4) | instskip(NEXT) | instid1(VALU_DEP_4)
	v_add_f64_e32 v[48:49], v[48:49], v[56:57]
	v_add_f64_e32 v[50:51], v[50:51], v[58:59]
	s_delay_alu instid0(VALU_DEP_4)
	v_add_f64_e32 v[52:53], v[147:148], v[52:53]
	v_mul_f64_e32 v[58:59], s[14:15], v[125:126]
	v_add_f64_e64 v[54:55], v[54:55], -v[141:142]
	v_mul_f64_e32 v[56:57], s[14:15], v[165:166]
	v_add_f64_e32 v[48:49], v[48:49], v[60:61]
	v_add_f64_e32 v[50:51], v[50:51], v[62:63]
	v_mul_f64_e32 v[62:63], s[6:7], v[125:126]
	v_add_f64_e64 v[58:59], v[58:59], -v[133:134]
	v_mul_f64_e32 v[60:61], s[6:7], v[165:166]
	v_add_f64_e32 v[56:57], v[137:138], v[56:57]
	v_add_f64_e32 v[48:49], v[48:49], v[64:65]
	;; [unrolled: 1-line block ×3, first 2 shown]
	scratch_load_b64 v[66:67], off, off offset:184 th:TH_LOAD_LU ; 8-byte Folded Reload
	v_mul_f64_e32 v[64:65], s[4:5], v[165:166]
	v_add_f64_e64 v[62:63], v[62:63], -v[114:115]
	v_add_f64_e32 v[60:61], v[127:128], v[60:61]
	v_mul_f64_e32 v[114:115], s[16:17], v[159:160]
	v_add_f64_e32 v[48:49], v[48:49], v[68:69]
	v_add_f64_e32 v[50:51], v[50:51], v[70:71]
	v_mul_f64_e32 v[70:71], s[4:5], v[125:126]
	s_delay_alu instid0(VALU_DEP_3) | instskip(SKIP_3) | instid1(VALU_DEP_2)
	v_add_f64_e32 v[48:49], v[48:49], v[72:73]
	scratch_load_b64 v[72:73], off, off offset:112 th:TH_LOAD_LU ; 8-byte Folded Reload
	v_add_f64_e32 v[50:51], v[50:51], v[74:75]
	v_add_f64_e32 v[48:49], v[48:49], v[80:81]
	;; [unrolled: 1-line block ×3, first 2 shown]
	s_delay_alu instid0(VALU_DEP_2) | instskip(NEXT) | instid1(VALU_DEP_2)
	v_add_f64_e32 v[48:49], v[48:49], v[84:85]
	v_add_f64_e32 v[50:51], v[50:51], v[86:87]
	s_delay_alu instid0(VALU_DEP_2) | instskip(NEXT) | instid1(VALU_DEP_2)
	v_add_f64_e32 v[48:49], v[48:49], v[88:89]
	v_add_f64_e32 v[50:51], v[50:51], v[90:91]
	;; [unrolled: 3-line block ×3, first 2 shown]
	v_mul_f64_e32 v[94:95], s[56:57], v[203:204]
	s_delay_alu instid0(VALU_DEP_3) | instskip(NEXT) | instid1(VALU_DEP_3)
	v_add_f64_e32 v[48:49], v[48:49], v[76:77]
	v_add_f64_e32 v[50:51], v[50:51], v[78:79]
	s_delay_alu instid0(VALU_DEP_2) | instskip(SKIP_1) | instid1(VALU_DEP_3)
	v_add_f64_e32 v[44:45], v[48:49], v[44:45]
	v_mul_f64_e32 v[48:49], s[20:21], v[165:166]
	v_add_f64_e32 v[46:47], v[50:51], v[46:47]
	v_mul_f64_e32 v[50:51], s[20:21], v[125:126]
	s_wait_loadcnt 0x1
	v_add_f64_e32 v[64:65], v[66:67], v[64:65]
	v_mul_f64_e32 v[66:67], s[42:43], v[129:130]
	v_add_f64_e32 v[40:41], v[44:45], v[40:41]
	v_add_f64_e32 v[48:49], v[155:156], v[48:49]
	;; [unrolled: 1-line block ×3, first 2 shown]
	v_mul_f64_e32 v[46:47], s[22:23], v[125:126]
	v_mul_f64_e32 v[44:45], s[22:23], v[165:166]
	v_add_f64_e64 v[50:51], v[50:51], -v[151:152]
	v_add_f64_e32 v[64:65], v[30:31], v[64:65]
	v_fma_f64 v[68:69], v[125:126], s[26:27], v[66:67]
	v_fma_f64 v[66:67], v[125:126], s[26:27], -v[66:67]
	v_add_f64_e32 v[36:37], v[40:41], v[36:37]
	v_add_f64_e32 v[80:81], v[30:31], v[48:49]
	;; [unrolled: 1-line block ×3, first 2 shown]
	v_mul_f64_e32 v[42:43], s[24:25], v[125:126]
	v_add_f64_e64 v[46:47], v[46:47], -v[161:162]
	v_add_f64_e32 v[48:49], v[30:31], v[52:53]
	v_mul_f64_e32 v[52:53], s[4:5], v[100:101]
	v_mul_f64_e32 v[40:41], s[24:25], v[165:166]
	v_add_f64_e32 v[44:45], v[167:168], v[44:45]
	v_add_f64_e32 v[82:83], v[28:29], v[50:51]
	;; [unrolled: 1-line block ×3, first 2 shown]
	v_mul_f64_e32 v[54:55], s[24:25], v[112:113]
	s_wait_loadcnt 0x0
	v_add_f64_e64 v[70:71], v[70:71], -v[72:73]
	v_add_f64_e32 v[68:69], v[28:29], v[68:69]
	v_add_f64_e32 v[66:67], v[28:29], v[66:67]
	;; [unrolled: 1-line block ×3, first 2 shown]
	v_mul_f64_e32 v[36:37], s[26:27], v[165:166]
	v_add_f64_e32 v[34:35], v[38:39], v[34:35]
	v_add_f64_e64 v[42:43], v[42:43], -v[187:188]
	v_add_f64_e32 v[78:79], v[28:29], v[46:47]
	v_add_f64_e32 v[46:47], v[28:29], v[58:59]
	;; [unrolled: 1-line block ×5, first 2 shown]
	v_fma_f64 v[56:57], v[169:170], s[48:49], v[54:55]
	v_fma_f64 v[54:55], v[169:170], s[38:39], v[54:55]
	v_add_f64_e32 v[70:71], v[28:29], v[70:71]
	v_fma_f64 v[38:39], v[171:172], s[52:53], v[36:37]
	v_fma_f64 v[36:37], v[171:172], s[42:43], v[36:37]
	v_add_f64_e32 v[74:75], v[28:29], v[42:43]
	v_add_f64_e32 v[42:43], v[28:29], v[62:63]
	v_fma_f64 v[28:29], v[157:158], s[10:11], v[52:53]
	v_fma_f64 v[52:53], v[157:158], s[46:47], v[52:53]
	v_add_f64_e32 v[72:73], v[30:31], v[40:41]
	v_add_f64_e32 v[40:41], v[30:31], v[60:61]
	v_add_f64_e32 v[38:39], v[30:31], v[38:39]
	v_add_f64_e32 v[36:37], v[30:31], v[36:37]
	s_delay_alu instid0(VALU_DEP_2) | instskip(SKIP_1) | instid1(VALU_DEP_3)
	v_add_f64_e32 v[28:29], v[28:29], v[38:39]
	v_mul_f64_e32 v[38:39], s[46:47], v[143:144]
	v_add_f64_e32 v[36:37], v[52:53], v[36:37]
	s_delay_alu instid0(VALU_DEP_3) | instskip(NEXT) | instid1(VALU_DEP_3)
	v_add_f64_e32 v[28:29], v[56:57], v[28:29]
	v_fma_f64 v[30:31], v[96:97], s[4:5], v[38:39]
	v_mul_f64_e32 v[56:57], s[38:39], v[163:164]
	v_fma_f64 v[38:39], v[96:97], s[4:5], -v[38:39]
	v_add_f64_e32 v[36:37], v[54:55], v[36:37]
	v_fma_f64 v[54:55], v[149:150], s[16:17], -v[94:95]
	v_add_f64_e32 v[30:31], v[30:31], v[68:69]
	v_fma_f64 v[58:59], v[104:105], s[24:25], v[56:57]
	v_add_f64_e32 v[38:39], v[38:39], v[66:67]
	v_fma_f64 v[52:53], v[104:105], s[24:25], -v[56:57]
	s_clause 0x1
	scratch_load_b64 v[56:57], off, off offset:288 th:TH_LOAD_LU
	scratch_load_b64 v[66:67], off, off offset:272 th:TH_LOAD_LU
	v_add_f64_e32 v[30:31], v[58:59], v[30:31]
	v_mul_f64_e32 v[58:59], s[6:7], v[121:122]
	v_add_f64_e32 v[38:39], v[52:53], v[38:39]
	s_delay_alu instid0(VALU_DEP_2) | instskip(SKIP_1) | instid1(VALU_DEP_2)
	v_fma_f64 v[60:61], v[175:176], s[18:19], v[58:59]
	v_fma_f64 v[58:59], v[175:176], s[50:51], v[58:59]
	v_add_f64_e32 v[28:29], v[60:61], v[28:29]
	v_mul_f64_e32 v[60:61], s[50:51], v[173:174]
	s_delay_alu instid0(VALU_DEP_3)
	v_add_f64_e32 v[36:37], v[58:59], v[36:37]
	scratch_load_b64 v[58:59], off, off offset:248 th:TH_LOAD_LU ; 8-byte Folded Reload
	v_fma_f64 v[62:63], v[108:109], s[6:7], v[60:61]
	v_fma_f64 v[52:53], v[108:109], s[6:7], -v[60:61]
	scratch_load_b64 v[60:61], off, off offset:224 th:TH_LOAD_LU ; 8-byte Folded Reload
	v_add_f64_e32 v[30:31], v[62:63], v[30:31]
	v_mul_f64_e32 v[62:63], s[22:23], v[135:136]
	v_add_f64_e32 v[38:39], v[52:53], v[38:39]
	s_delay_alu instid0(VALU_DEP_2) | instskip(SKIP_1) | instid1(VALU_DEP_2)
	v_fma_f64 v[68:69], v[179:180], s[54:55], v[62:63]
	v_fma_f64 v[62:63], v[179:180], s[36:37], v[62:63]
	v_add_f64_e32 v[28:29], v[68:69], v[28:29]
	v_mul_f64_e32 v[68:69], s[36:37], v[177:178]
	s_delay_alu instid0(VALU_DEP_3)
	v_add_f64_e32 v[36:37], v[62:63], v[36:37]
	scratch_load_b64 v[62:63], off, off offset:216 th:TH_LOAD_LU ; 8-byte Folded Reload
	v_fma_f64 v[84:85], v[116:117], s[22:23], v[68:69]
	v_fma_f64 v[52:53], v[116:117], s[22:23], -v[68:69]
	scratch_load_b64 v[68:69], off, off offset:232 th:TH_LOAD_LU ; 8-byte Folded Reload
	v_add_f64_e32 v[30:31], v[84:85], v[30:31]
	v_mul_f64_e32 v[84:85], s[14:15], v[145:146]
	v_add_f64_e32 v[38:39], v[52:53], v[38:39]
	s_delay_alu instid0(VALU_DEP_2) | instskip(SKIP_1) | instid1(VALU_DEP_2)
	v_fma_f64 v[86:87], v[183:184], s[28:29], v[84:85]
	v_fma_f64 v[84:85], v[183:184], s[40:41], v[84:85]
	v_add_f64_e32 v[28:29], v[86:87], v[28:29]
	v_mul_f64_e32 v[86:87], s[40:41], v[181:182]
	s_delay_alu instid0(VALU_DEP_3)
	v_add_f64_e32 v[36:37], v[84:85], v[36:37]
	scratch_load_b64 v[84:85], off, off offset:192 th:TH_LOAD_LU ; 8-byte Folded Reload
	v_fma_f64 v[88:89], v[131:132], s[14:15], v[86:87]
	v_fma_f64 v[52:53], v[131:132], s[14:15], -v[86:87]
	scratch_load_b64 v[86:87], off, off offset:200 th:TH_LOAD_LU ; 8-byte Folded Reload
	v_add_f64_e32 v[30:31], v[88:89], v[30:31]
	v_mul_f64_e32 v[88:89], s[20:21], v[153:154]
	v_add_f64_e32 v[38:39], v[52:53], v[38:39]
	s_delay_alu instid0(VALU_DEP_2) | instskip(SKIP_1) | instid1(VALU_DEP_2)
	v_fma_f64 v[90:91], v[191:192], s[44:45], v[88:89]
	v_fma_f64 v[88:89], v[191:192], s[34:35], v[88:89]
	v_add_f64_e32 v[28:29], v[90:91], v[28:29]
	v_mul_f64_e32 v[90:91], s[34:35], v[185:186]
	s_delay_alu instid0(VALU_DEP_3) | instskip(NEXT) | instid1(VALU_DEP_2)
	v_add_f64_e32 v[36:37], v[88:89], v[36:37]
	v_fma_f64 v[92:93], v[139:140], s[20:21], v[90:91]
	v_fma_f64 v[52:53], v[139:140], s[20:21], -v[90:91]
	s_delay_alu instid0(VALU_DEP_2) | instskip(SKIP_1) | instid1(VALU_DEP_3)
	v_add_f64_e32 v[92:93], v[92:93], v[30:31]
	v_fma_f64 v[30:31], v[209:210], s[30:31], v[114:115]
	v_add_f64_e32 v[52:53], v[52:53], v[38:39]
	s_delay_alu instid0(VALU_DEP_2) | instskip(SKIP_1) | instid1(VALU_DEP_1)
	v_add_f64_e32 v[30:31], v[30:31], v[28:29]
	v_fma_f64 v[28:29], v[149:150], s[16:17], v[94:95]
	v_add_f64_e32 v[28:29], v[28:29], v[92:93]
	v_fma_f64 v[92:93], v[209:210], s[56:57], v[114:115]
	s_delay_alu instid0(VALU_DEP_1) | instskip(SKIP_4) | instid1(VALU_DEP_1)
	v_add_f64_e32 v[38:39], v[92:93], v[36:37]
	v_add_f64_e32 v[36:37], v[54:55], v[52:53]
	scratch_load_b64 v[54:55], off, off offset:336 th:TH_LOAD_LU ; 8-byte Folded Reload
	v_mul_f64_e32 v[52:53], s[20:21], v[145:146]
	s_wait_loadcnt 0x0
	v_add_f64_e32 v[52:53], v[54:55], v[52:53]
	v_mul_f64_e32 v[54:55], s[24:25], v[135:136]
	s_delay_alu instid0(VALU_DEP_1) | instskip(SKIP_1) | instid1(VALU_DEP_1)
	v_add_f64_e32 v[54:55], v[56:57], v[54:55]
	v_mul_f64_e32 v[56:57], s[26:27], v[121:122]
	v_add_f64_e32 v[56:57], v[58:59], v[56:57]
	v_mul_f64_e32 v[58:59], s[22:23], v[112:113]
	s_delay_alu instid0(VALU_DEP_1) | instskip(SKIP_1) | instid1(VALU_DEP_1)
	v_add_f64_e32 v[58:59], v[60:61], v[58:59]
	v_mul_f64_e32 v[60:61], s[16:17], v[100:101]
	v_add_f64_e32 v[60:61], v[62:63], v[60:61]
	v_mul_f64_e32 v[62:63], s[20:21], v[131:132]
	s_delay_alu instid0(VALU_DEP_2) | instskip(NEXT) | instid1(VALU_DEP_2)
	v_add_f64_e32 v[40:41], v[60:61], v[40:41]
	v_add_f64_e64 v[62:63], v[62:63], -v[66:67]
	v_mul_f64_e32 v[66:67], s[24:25], v[116:117]
	v_mul_f64_e32 v[60:61], s[26:27], v[108:109]
	s_delay_alu instid0(VALU_DEP_4) | instskip(SKIP_1) | instid1(VALU_DEP_4)
	v_add_f64_e32 v[40:41], v[58:59], v[40:41]
	v_mul_f64_e32 v[58:59], s[14:15], v[153:154]
	v_add_f64_e64 v[66:67], v[66:67], -v[68:69]
	v_mul_f64_e32 v[68:69], s[16:17], v[96:97]
	s_delay_alu instid0(VALU_DEP_4) | instskip(SKIP_1) | instid1(VALU_DEP_3)
	v_add_f64_e32 v[40:41], v[56:57], v[40:41]
	v_mul_f64_e32 v[56:57], s[14:15], v[139:140]
	v_add_f64_e64 v[68:69], v[68:69], -v[84:85]
	v_mul_f64_e32 v[84:85], s[22:23], v[104:105]
	s_delay_alu instid0(VALU_DEP_4) | instskip(SKIP_1) | instid1(VALU_DEP_4)
	v_add_f64_e32 v[40:41], v[54:55], v[40:41]
	v_mul_f64_e32 v[54:55], s[4:5], v[159:160]
	v_add_f64_e32 v[42:43], v[68:69], v[42:43]
	scratch_load_b64 v[68:69], off, off offset:208 th:TH_LOAD_LU ; 8-byte Folded Reload
	v_add_f64_e64 v[84:85], v[84:85], -v[86:87]
	v_add_f64_e32 v[40:41], v[52:53], v[40:41]
	v_mul_f64_e32 v[52:53], s[4:5], v[149:150]
	s_delay_alu instid0(VALU_DEP_3)
	v_add_f64_e32 v[42:43], v[84:85], v[42:43]
	scratch_load_b64 v[84:85], off, off offset:256 th:TH_LOAD_LU ; 8-byte Folded Reload
	s_wait_loadcnt 0x1
	v_add_f64_e64 v[60:61], v[60:61], -v[68:69]
	scratch_load_b64 v[68:69], off, off offset:296 th:TH_LOAD_LU ; 8-byte Folded Reload
	v_add_f64_e32 v[42:43], v[60:61], v[42:43]
	scratch_load_b64 v[60:61], off, off offset:240 th:TH_LOAD_LU ; 8-byte Folded Reload
	v_add_f64_e32 v[42:43], v[66:67], v[42:43]
	s_clause 0x1
	scratch_load_b64 v[66:67], off, off offset:496 th:TH_LOAD_LU
	scratch_load_b64 v[86:87], off, off offset:280 th:TH_LOAD_LU
	v_add_f64_e32 v[42:43], v[62:63], v[42:43]
	scratch_load_b64 v[62:63], off, off offset:312 th:TH_LOAD_LU ; 8-byte Folded Reload
	s_wait_loadcnt 0x3
	v_add_f64_e64 v[56:57], v[56:57], -v[60:61]
	scratch_load_b64 v[60:61], off, off offset:328 th:TH_LOAD_LU ; 8-byte Folded Reload
	v_add_f64_e32 v[56:57], v[56:57], v[42:43]
	s_wait_loadcnt 0x0
	v_add_f64_e32 v[54:55], v[60:61], v[54:55]
	scratch_load_b64 v[60:61], off, off offset:264 th:TH_LOAD_LU ; 8-byte Folded Reload
	v_add_f64_e32 v[58:59], v[68:69], v[58:59]
	scratch_load_b64 v[68:69], off, off offset:400 th:TH_LOAD_LU ; 8-byte Folded Reload
	;; [unrolled: 2-line block ×3, first 2 shown]
	v_add_f64_e32 v[42:43], v[54:55], v[40:41]
	v_mul_f64_e32 v[54:55], s[6:7], v[135:136]
	s_wait_loadcnt 0x2
	v_add_f64_e64 v[52:53], v[52:53], -v[60:61]
	scratch_load_b64 v[60:61], off, off offset:344 th:TH_LOAD_LU ; 8-byte Folded Reload
	v_add_f64_e32 v[40:41], v[52:53], v[56:57]
	scratch_load_b64 v[56:57], off, off offset:528 th:TH_LOAD_LU ; 8-byte Folded Reload
	v_mul_f64_e32 v[52:53], s[4:5], v[145:146]
	s_delay_alu instid0(VALU_DEP_1) | instskip(SKIP_3) | instid1(VALU_DEP_1)
	v_add_f64_e32 v[52:53], v[217:218], v[52:53]
	s_wait_loadcnt 0x0
	v_add_f64_e32 v[54:55], v[56:57], v[54:55]
	v_mul_f64_e32 v[56:57], s[20:21], v[121:122]
	v_add_f64_e32 v[56:57], v[58:59], v[56:57]
	v_mul_f64_e32 v[58:59], s[26:27], v[112:113]
	s_delay_alu instid0(VALU_DEP_1) | instskip(SKIP_1) | instid1(VALU_DEP_1)
	v_add_f64_e32 v[58:59], v[60:61], v[58:59]
	v_mul_f64_e32 v[60:61], s[22:23], v[100:101]
	v_add_f64_e32 v[60:61], v[62:63], v[60:61]
	v_mul_f64_e32 v[62:63], s[4:5], v[131:132]
	s_delay_alu instid0(VALU_DEP_2) | instskip(NEXT) | instid1(VALU_DEP_2)
	v_add_f64_e32 v[44:45], v[60:61], v[44:45]
	v_add_f64_e64 v[62:63], v[62:63], -v[66:67]
	v_mul_f64_e32 v[66:67], s[6:7], v[116:117]
	v_mul_f64_e32 v[60:61], s[20:21], v[108:109]
	s_delay_alu instid0(VALU_DEP_4) | instskip(SKIP_1) | instid1(VALU_DEP_4)
	v_add_f64_e32 v[44:45], v[58:59], v[44:45]
	v_mul_f64_e32 v[58:59], s[16:17], v[153:154]
	v_add_f64_e64 v[66:67], v[66:67], -v[68:69]
	v_mul_f64_e32 v[68:69], s[22:23], v[96:97]
	s_delay_alu instid0(VALU_DEP_4) | instskip(SKIP_1) | instid1(VALU_DEP_3)
	v_add_f64_e32 v[44:45], v[56:57], v[44:45]
	v_mul_f64_e32 v[56:57], s[16:17], v[139:140]
	v_add_f64_e64 v[68:69], v[68:69], -v[84:85]
	v_mul_f64_e32 v[84:85], s[26:27], v[104:105]
	s_delay_alu instid0(VALU_DEP_4) | instskip(SKIP_1) | instid1(VALU_DEP_4)
	v_add_f64_e32 v[44:45], v[54:55], v[44:45]
	v_mul_f64_e32 v[54:55], s[24:25], v[159:160]
	v_add_f64_e32 v[46:47], v[68:69], v[46:47]
	scratch_load_b64 v[68:69], off, off offset:304 th:TH_LOAD_LU ; 8-byte Folded Reload
	v_add_f64_e64 v[84:85], v[84:85], -v[86:87]
	scratch_load_b64 v[86:87], off, off offset:352 th:TH_LOAD_LU ; 8-byte Folded Reload
	v_add_f64_e32 v[44:45], v[52:53], v[44:45]
	v_mul_f64_e32 v[52:53], s[24:25], v[149:150]
	v_add_f64_e32 v[46:47], v[84:85], v[46:47]
	scratch_load_b64 v[84:85], off, off offset:320 th:TH_LOAD_LU ; 8-byte Folded Reload
	s_wait_loadcnt 0x2
	v_add_f64_e64 v[60:61], v[60:61], -v[68:69]
	scratch_load_b64 v[68:69], off, off offset:448 th:TH_LOAD_LU ; 8-byte Folded Reload
	v_add_f64_e32 v[46:47], v[60:61], v[46:47]
	scratch_load_b64 v[60:61], off, off offset:392 th:TH_LOAD_LU ; 8-byte Folded Reload
	v_add_f64_e32 v[46:47], v[66:67], v[46:47]
	v_mul_f64_e32 v[66:67], s[14:15], v[116:117]
	s_delay_alu instid0(VALU_DEP_2)
	v_add_f64_e32 v[46:47], v[62:63], v[46:47]
	scratch_load_b64 v[62:63], off, off offset:384 th:TH_LOAD_LU ; 8-byte Folded Reload
	s_wait_loadcnt 0x2
	v_add_f64_e32 v[58:59], v[68:69], v[58:59]
	scratch_load_b64 v[68:69], off, off offset:488 th:TH_LOAD_LU ; 8-byte Folded Reload
	v_add_f64_e32 v[44:45], v[58:59], v[44:45]
	scratch_load_b64 v[58:59], off, off offset:544 th:TH_LOAD_LU ; 8-byte Folded Reload
	s_wait_loadcnt 0x1
	v_add_f64_e64 v[66:67], v[66:67], -v[68:69]
	v_mul_f64_e32 v[68:69], s[26:27], v[96:97]
	s_delay_alu instid0(VALU_DEP_1) | instskip(SKIP_1) | instid1(VALU_DEP_2)
	v_add_f64_e64 v[68:69], v[68:69], -v[84:85]
	v_mul_f64_e32 v[84:85], s[20:21], v[104:105]
	v_add_f64_e32 v[50:51], v[68:69], v[50:51]
	s_delay_alu instid0(VALU_DEP_2)
	v_add_f64_e64 v[84:85], v[84:85], -v[86:87]
	scratch_load_b64 v[86:87], off, off offset:416 th:TH_LOAD_LU ; 8-byte Folded Reload
	v_add_f64_e64 v[56:57], v[56:57], -v[60:61]
	s_clause 0x1
	scratch_load_b64 v[60:61], off, off offset:440 th:TH_LOAD_LU
	scratch_load_b64 v[68:69], off, off offset:368 th:TH_LOAD_LU
	v_add_f64_e32 v[50:51], v[84:85], v[50:51]
	scratch_load_b64 v[84:85], off, off offset:360 th:TH_LOAD_LU ; 8-byte Folded Reload
	v_add_f64_e32 v[56:57], v[56:57], v[46:47]
	s_wait_loadcnt 0x2
	v_add_f64_e32 v[54:55], v[60:61], v[54:55]
	scratch_load_b64 v[60:61], off, off offset:376 th:TH_LOAD_LU ; 8-byte Folded Reload
	v_add_f64_e32 v[46:47], v[54:55], v[44:45]
	v_mul_f64_e32 v[54:55], s[14:15], v[135:136]
	s_delay_alu instid0(VALU_DEP_1)
	v_add_f64_e32 v[54:55], v[207:208], v[54:55]
	s_wait_loadcnt 0x0
	v_add_f64_e64 v[52:53], v[52:53], -v[60:61]
	scratch_load_b64 v[60:61], off, off offset:464 th:TH_LOAD_LU ; 8-byte Folded Reload
	v_add_f64_e32 v[44:45], v[52:53], v[56:57]
	v_mul_f64_e32 v[56:57], s[4:5], v[121:122]
	v_mul_f64_e32 v[52:53], s[24:25], v[145:146]
	s_delay_alu instid0(VALU_DEP_2) | instskip(SKIP_1) | instid1(VALU_DEP_3)
	v_add_f64_e32 v[56:57], v[58:59], v[56:57]
	v_mul_f64_e32 v[58:59], s[20:21], v[112:113]
	v_add_f64_e32 v[52:53], v[233:234], v[52:53]
	s_wait_loadcnt 0x0
	s_delay_alu instid0(VALU_DEP_2) | instskip(SKIP_1) | instid1(VALU_DEP_1)
	v_add_f64_e32 v[58:59], v[60:61], v[58:59]
	v_mul_f64_e32 v[60:61], s[26:27], v[100:101]
	v_add_f64_e32 v[60:61], v[62:63], v[60:61]
	v_mul_f64_e32 v[62:63], s[24:25], v[131:132]
	s_delay_alu instid0(VALU_DEP_2) | instskip(SKIP_1) | instid1(VALU_DEP_3)
	v_add_f64_e32 v[48:49], v[60:61], v[48:49]
	v_mul_f64_e32 v[60:61], s[4:5], v[108:109]
	v_add_f64_e64 v[62:63], v[62:63], -v[195:196]
	s_delay_alu instid0(VALU_DEP_3) | instskip(NEXT) | instid1(VALU_DEP_3)
	v_add_f64_e32 v[48:49], v[58:59], v[48:49]
	v_add_f64_e64 v[60:61], v[60:61], -v[68:69]
	scratch_load_b64 v[68:69], off, off offset:552 th:TH_LOAD_LU ; 8-byte Folded Reload
	v_mul_f64_e32 v[58:59], s[22:23], v[153:154]
	v_add_f64_e32 v[48:49], v[56:57], v[48:49]
	v_add_f64_e32 v[50:51], v[60:61], v[50:51]
	scratch_load_b64 v[60:61], off, off offset:480 th:TH_LOAD_LU ; 8-byte Folded Reload
	v_mul_f64_e32 v[56:57], s[22:23], v[139:140]
	v_add_f64_e32 v[48:49], v[54:55], v[48:49]
	v_mul_f64_e32 v[54:55], s[6:7], v[159:160]
	v_add_f64_e32 v[50:51], v[66:67], v[50:51]
	v_mul_f64_e32 v[66:67], s[26:27], v[116:117]
	s_delay_alu instid0(VALU_DEP_4) | instskip(SKIP_1) | instid1(VALU_DEP_4)
	v_add_f64_e32 v[48:49], v[52:53], v[48:49]
	v_mul_f64_e32 v[52:53], s[6:7], v[149:150]
	v_add_f64_e32 v[50:51], v[62:63], v[50:51]
	s_delay_alu instid0(VALU_DEP_4) | instskip(SKIP_4) | instid1(VALU_DEP_2)
	v_add_f64_e64 v[66:67], v[66:67], -v[199:200]
	scratch_load_b64 v[62:63], off, off offset:472 th:TH_LOAD_LU ; 8-byte Folded Reload
	s_wait_loadcnt 0x2
	v_add_f64_e32 v[58:59], v[68:69], v[58:59]
	v_mul_f64_e32 v[68:69], s[24:25], v[96:97]
	v_add_f64_e32 v[48:49], v[58:59], v[48:49]
	s_delay_alu instid0(VALU_DEP_2) | instskip(SKIP_2) | instid1(VALU_DEP_3)
	v_add_f64_e64 v[68:69], v[68:69], -v[84:85]
	v_mul_f64_e32 v[84:85], s[6:7], v[104:105]
	v_mul_f64_e32 v[58:59], s[6:7], v[112:113]
	v_add_f64_e32 v[68:69], v[68:69], v[82:83]
	s_delay_alu instid0(VALU_DEP_3)
	v_add_f64_e64 v[84:85], v[84:85], -v[86:87]
	scratch_load_b64 v[86:87], off, off offset:512 th:TH_LOAD_LU ; 8-byte Folded Reload
	s_wait_loadcnt 0x2
	v_add_f64_e64 v[56:57], v[56:57], -v[60:61]
	s_clause 0x1
	scratch_load_b64 v[60:61], off, off offset:536 th:TH_LOAD_LU
	scratch_load_b64 v[82:83], off, off offset:432 th:TH_LOAD_LU
	v_add_f64_e32 v[56:57], v[56:57], v[50:51]
	s_wait_loadcnt 0x1
	v_add_f64_e32 v[54:55], v[60:61], v[54:55]
	scratch_load_b64 v[60:61], off, off offset:456 th:TH_LOAD_LU ; 8-byte Folded Reload
	v_add_f64_e32 v[50:51], v[54:55], v[48:49]
	v_mul_f64_e32 v[54:55], s[26:27], v[135:136]
	s_delay_alu instid0(VALU_DEP_1)
	v_add_f64_e32 v[54:55], v[241:242], v[54:55]
	s_wait_loadcnt 0x0
	v_add_f64_e64 v[52:53], v[52:53], -v[60:61]
	scratch_load_b64 v[60:61], off, off offset:568 th:TH_LOAD_LU ; 8-byte Folded Reload
	v_add_f64_e32 v[48:49], v[52:53], v[56:57]
	v_mul_f64_e32 v[56:57], s[14:15], v[121:122]
	v_mul_f64_e32 v[52:53], s[16:17], v[145:146]
	s_delay_alu instid0(VALU_DEP_2) | instskip(NEXT) | instid1(VALU_DEP_2)
	v_add_f64_e32 v[56:57], v[215:216], v[56:57]
	v_add_f64_e32 v[52:53], v[102:103], v[52:53]
	s_wait_loadcnt 0x0
	v_add_f64_e32 v[58:59], v[60:61], v[58:59]
	v_mul_f64_e32 v[60:61], s[24:25], v[100:101]
	s_delay_alu instid0(VALU_DEP_1) | instskip(SKIP_1) | instid1(VALU_DEP_2)
	v_add_f64_e32 v[60:61], v[62:63], v[60:61]
	v_mul_f64_e32 v[62:63], s[16:17], v[131:132]
	v_add_f64_e32 v[60:61], v[60:61], v[80:81]
	v_mul_f64_e32 v[80:81], s[14:15], v[108:109]
	s_delay_alu instid0(VALU_DEP_3) | instskip(NEXT) | instid1(VALU_DEP_3)
	v_add_f64_e64 v[62:63], v[62:63], -v[227:228]
	v_add_f64_e32 v[58:59], v[58:59], v[60:61]
	v_add_f64_e32 v[60:61], v[84:85], v[68:69]
	scratch_load_b64 v[84:85], off, off offset:424 th:TH_LOAD_LU ; 8-byte Folded Reload
	v_add_f64_e64 v[80:81], v[80:81], -v[82:83]
	v_mul_f64_e32 v[68:69], s[4:5], v[153:154]
	v_mul_f64_e32 v[82:83], s[20:21], v[96:97]
	v_add_f64_e32 v[56:57], v[56:57], v[58:59]
	s_delay_alu instid0(VALU_DEP_4) | instskip(NEXT) | instid1(VALU_DEP_4)
	v_add_f64_e32 v[58:59], v[80:81], v[60:61]
	v_add_f64_e32 v[68:69], v[219:220], v[68:69]
	scratch_load_b64 v[80:81], off, off offset:584 th:TH_LOAD_LU ; 8-byte Folded Reload
	v_mul_f64_e32 v[60:61], s[4:5], v[139:140]
	v_add_f64_e32 v[54:55], v[54:55], v[56:57]
	v_add_f64_e32 v[56:57], v[66:67], v[58:59]
	v_mul_f64_e32 v[66:67], s[20:21], v[100:101]
	v_mul_f64_e32 v[58:59], s[22:23], v[159:160]
	s_delay_alu instid0(VALU_DEP_4) | instskip(NEXT) | instid1(VALU_DEP_4)
	v_add_f64_e32 v[52:53], v[52:53], v[54:55]
	v_add_f64_e32 v[54:55], v[62:63], v[56:57]
	scratch_load_b64 v[62:63], off, off offset:560 th:TH_LOAD_LU ; 8-byte Folded Reload
	v_mul_f64_e32 v[56:57], s[22:23], v[149:150]
	v_add_f64_e32 v[58:59], v[211:212], v[58:59]
	v_add_f64_e32 v[52:53], v[68:69], v[52:53]
	scratch_load_b64 v[68:69], off, off offset:576 th:TH_LOAD_LU ; 8-byte Folded Reload
	s_wait_loadcnt 0x3
	v_add_f64_e64 v[82:83], v[82:83], -v[84:85]
	v_mul_f64_e32 v[84:85], s[4:5], v[104:105]
	s_delay_alu instid0(VALU_DEP_1) | instskip(SKIP_4) | instid1(VALU_DEP_2)
	v_add_f64_e64 v[84:85], v[84:85], -v[86:87]
	scratch_load_b64 v[86:87], off, off offset:72 th:TH_LOAD_LU ; 8-byte Folded Reload
	s_wait_loadcnt 0x3
	v_add_f64_e64 v[60:61], v[60:61], -v[80:81]
	v_mul_f64_e32 v[80:81], s[16:17], v[116:117]
	v_add_f64_e32 v[60:61], v[60:61], v[54:55]
	v_add_f64_e32 v[54:55], v[58:59], v[52:53]
	v_mul_f64_e32 v[58:59], s[16:17], v[135:136]
	s_delay_alu instid0(VALU_DEP_4) | instskip(NEXT) | instid1(VALU_DEP_2)
	v_add_f64_e64 v[80:81], v[80:81], -v[225:226]
	v_add_f64_e32 v[58:59], v[253:254], v[58:59]
	s_wait_loadcnt 0x1
	v_add_f64_e32 v[66:67], v[68:69], v[66:67]
	v_mul_f64_e32 v[68:69], s[6:7], v[131:132]
	s_delay_alu instid0(VALU_DEP_2)
	v_add_f64_e32 v[66:67], v[66:67], v[76:77]
	v_add_f64_e32 v[76:77], v[82:83], v[78:79]
	scratch_load_b64 v[82:83], off, off offset:520 th:TH_LOAD_LU ; 8-byte Folded Reload
	v_add_f64_e64 v[56:57], v[56:57], -v[62:63]
	v_mul_f64_e32 v[62:63], s[4:5], v[112:113]
	v_mul_f64_e32 v[78:79], s[24:25], v[108:109]
	v_add_f64_e64 v[68:69], v[68:69], -v[247:248]
	s_delay_alu instid0(VALU_DEP_4) | instskip(NEXT) | instid1(VALU_DEP_4)
	v_add_f64_e32 v[52:53], v[56:57], v[60:61]
	v_add_f64_e32 v[62:63], v[223:224], v[62:63]
	v_mul_f64_e32 v[60:61], s[24:25], v[121:122]
	v_mul_f64_e32 v[56:57], s[6:7], v[145:146]
	s_delay_alu instid0(VALU_DEP_3)
	v_add_f64_e32 v[62:63], v[62:63], v[66:67]
	v_add_f64_e32 v[66:67], v[84:85], v[76:77]
	scratch_load_b64 v[84:85], off, off offset:504 th:TH_LOAD_LU ; 8-byte Folded Reload
	v_add_f64_e32 v[60:61], v[243:244], v[60:61]
	v_add_f64_e32 v[56:57], v[118:119], v[56:57]
	v_mul_f64_e32 v[76:77], s[26:27], v[153:154]
	s_delay_alu instid0(VALU_DEP_3) | instskip(NEXT) | instid1(VALU_DEP_2)
	v_add_f64_e32 v[60:61], v[60:61], v[62:63]
	v_add_f64_e32 v[76:77], v[235:236], v[76:77]
	s_delay_alu instid0(VALU_DEP_2) | instskip(NEXT) | instid1(VALU_DEP_1)
	v_add_f64_e32 v[58:59], v[58:59], v[60:61]
	v_add_f64_e32 v[56:57], v[56:57], v[58:59]
	s_delay_alu instid0(VALU_DEP_1) | instskip(SKIP_1) | instid1(VALU_DEP_1)
	v_add_f64_e32 v[56:57], v[76:77], v[56:57]
	v_mul_f64_e32 v[76:77], s[14:15], v[100:101]
	v_add_f64_e32 v[76:77], v[213:214], v[76:77]
	s_delay_alu instid0(VALU_DEP_1) | instskip(SKIP_4) | instid1(VALU_DEP_3)
	v_add_f64_e32 v[72:73], v[76:77], v[72:73]
	v_mul_f64_e32 v[76:77], s[22:23], v[108:109]
	s_wait_loadcnt 0x1
	v_add_f64_e64 v[78:79], v[78:79], -v[82:83]
	v_mul_f64_e32 v[82:83], s[14:15], v[96:97]
	v_add_f64_e64 v[76:77], v[76:77], -v[201:202]
	s_delay_alu instid0(VALU_DEP_3) | instskip(SKIP_2) | instid1(VALU_DEP_3)
	v_add_f64_e32 v[62:63], v[78:79], v[66:67]
	v_mul_f64_e32 v[66:67], s[26:27], v[139:140]
	v_mul_f64_e32 v[78:79], s[26:27], v[131:132]
	v_add_f64_e32 v[60:61], v[80:81], v[62:63]
	s_delay_alu instid0(VALU_DEP_3)
	v_add_f64_e64 v[66:67], v[66:67], -v[221:222]
	v_mul_f64_e32 v[62:63], s[14:15], v[159:160]
	v_mul_f64_e32 v[80:81], s[4:5], v[116:117]
	s_wait_loadcnt 0x0
	v_add_f64_e64 v[82:83], v[82:83], -v[84:85]
	v_mul_f64_e32 v[84:85], s[16:17], v[104:105]
	v_add_f64_e64 v[78:79], v[78:79], -v[106:107]
	v_add_f64_e32 v[58:59], v[68:69], v[60:61]
	v_mul_f64_e32 v[60:61], s[14:15], v[149:150]
	v_add_f64_e32 v[62:63], v[231:232], v[62:63]
	v_mul_f64_e32 v[68:69], s[16:17], v[112:113]
	v_add_f64_e32 v[74:75], v[82:83], v[74:75]
	v_add_f64_e64 v[84:85], v[84:85], -v[197:198]
	v_add_f64_e64 v[80:81], v[80:81], -v[245:246]
	v_add_f64_e32 v[66:67], v[66:67], v[58:59]
	v_add_f64_e64 v[60:61], v[60:61], -v[205:206]
	v_add_f64_e32 v[58:59], v[62:63], v[56:57]
	v_add_f64_e32 v[68:69], v[239:240], v[68:69]
	v_mul_f64_e32 v[62:63], s[4:5], v[135:136]
	s_delay_alu instid0(VALU_DEP_4) | instskip(SKIP_1) | instid1(VALU_DEP_4)
	v_add_f64_e32 v[56:57], v[60:61], v[66:67]
	v_mul_f64_e32 v[66:67], s[22:23], v[121:122]
	v_add_f64_e32 v[68:69], v[68:69], v[72:73]
	v_mul_f64_e32 v[60:61], s[26:27], v[145:146]
	v_add_f64_e32 v[62:63], v[110:111], v[62:63]
	v_add_f64_e32 v[72:73], v[84:85], v[74:75]
	v_mul_f64_e32 v[74:75], s[6:7], v[153:154]
	s_clause 0x1
	scratch_load_b64 v[84:85], off, off offset:64 th:TH_LOAD_LU
	scratch_load_b64 v[82:83], off, off offset:32 th:TH_LOAD_LU
	v_add_f64_e32 v[66:67], v[251:252], v[66:67]
	v_add_f64_e32 v[60:61], v[123:124], v[60:61]
	;; [unrolled: 1-line block ×3, first 2 shown]
	s_delay_alu instid0(VALU_DEP_3) | instskip(SKIP_2) | instid1(VALU_DEP_3)
	v_add_f64_e32 v[66:67], v[66:67], v[68:69]
	v_add_f64_e32 v[68:69], v[76:77], v[72:73]
	v_mul_f64_e32 v[72:73], s[6:7], v[139:140]
	v_add_f64_e32 v[62:63], v[62:63], v[66:67]
	s_delay_alu instid0(VALU_DEP_3) | instskip(SKIP_1) | instid1(VALU_DEP_4)
	v_add_f64_e32 v[66:67], v[80:81], v[68:69]
	v_mul_f64_e32 v[68:69], s[20:21], v[159:160]
	v_add_f64_e64 v[72:73], v[72:73], -v[237:238]
	s_clause 0x1
	scratch_load_b64 v[80:81], off, off offset:120 th:TH_LOAD_LU
	scratch_load_b64 v[76:77], off, off offset:80 th:TH_LOAD_LU
	v_add_f64_e32 v[60:61], v[60:61], v[62:63]
	v_add_f64_e32 v[62:63], v[78:79], v[66:67]
	;; [unrolled: 1-line block ×3, first 2 shown]
	v_mul_f64_e32 v[66:67], s[20:21], v[149:150]
	scratch_load_b64 v[78:79], off, off offset:48 th:TH_LOAD_LU ; 8-byte Folded Reload
	v_add_f64_e32 v[60:61], v[74:75], v[60:61]
	v_add_f64_e32 v[72:73], v[72:73], v[62:63]
	scratch_load_b64 v[74:75], off, off offset:96 th:TH_LOAD_LU ; 8-byte Folded Reload
	v_add_f64_e64 v[66:67], v[66:67], -v[229:230]
	v_add_f64_e32 v[62:63], v[68:69], v[60:61]
	scratch_load_b64 v[68:69], off, off offset:144 th:TH_LOAD_LU ; 8-byte Folded Reload
	v_add_f64_e32 v[60:61], v[66:67], v[72:73]
	scratch_load_b64 v[72:73], off, off offset:128 th:TH_LOAD_LU ; 8-byte Folded Reload
	v_mul_f64_e32 v[66:67], s[22:23], v[145:146]
	s_wait_loadcnt 0x1
	s_delay_alu instid0(VALU_DEP_1) | instskip(SKIP_2) | instid1(VALU_DEP_1)
	v_add_f64_e32 v[66:67], v[68:69], v[66:67]
	v_mul_f64_e32 v[68:69], s[20:21], v[135:136]
	s_wait_loadcnt 0x0
	v_add_f64_e32 v[68:69], v[72:73], v[68:69]
	v_mul_f64_e32 v[72:73], s[16:17], v[121:122]
	s_delay_alu instid0(VALU_DEP_1) | instskip(SKIP_1) | instid1(VALU_DEP_1)
	v_add_f64_e32 v[72:73], v[74:75], v[72:73]
	v_mul_f64_e32 v[74:75], s[14:15], v[112:113]
	v_add_f64_e32 v[74:75], v[76:77], v[74:75]
	v_mul_f64_e32 v[76:77], s[6:7], v[100:101]
	s_delay_alu instid0(VALU_DEP_1) | instskip(SKIP_1) | instid1(VALU_DEP_2)
	v_add_f64_e32 v[76:77], v[78:79], v[76:77]
	v_mul_f64_e32 v[78:79], s[22:23], v[131:132]
	v_add_f64_e32 v[64:65], v[76:77], v[64:65]
	s_delay_alu instid0(VALU_DEP_2) | instskip(SKIP_2) | instid1(VALU_DEP_4)
	v_add_f64_e64 v[78:79], v[78:79], -v[80:81]
	v_mul_f64_e32 v[80:81], s[6:7], v[96:97]
	v_mul_f64_e32 v[76:77], s[20:21], v[116:117]
	v_add_f64_e32 v[64:65], v[74:75], v[64:65]
	v_mul_f64_e32 v[74:75], s[24:25], v[153:154]
	s_delay_alu instid0(VALU_DEP_4) | instskip(SKIP_1) | instid1(VALU_DEP_4)
	v_add_f64_e64 v[80:81], v[80:81], -v[82:83]
	v_mul_f64_e32 v[82:83], s[14:15], v[104:105]
	v_add_f64_e32 v[64:65], v[72:73], v[64:65]
	v_mul_f64_e32 v[72:73], s[24:25], v[139:140]
	s_delay_alu instid0(VALU_DEP_4) | instskip(SKIP_4) | instid1(VALU_DEP_3)
	v_add_f64_e32 v[70:71], v[80:81], v[70:71]
	scratch_load_b64 v[80:81], off, off offset:88 th:TH_LOAD_LU ; 8-byte Folded Reload
	v_add_f64_e64 v[82:83], v[82:83], -v[84:85]
	v_mul_f64_e32 v[84:85], s[16:17], v[108:109]
	v_add_f64_e32 v[64:65], v[68:69], v[64:65]
	v_add_f64_e32 v[70:71], v[82:83], v[70:71]
	s_delay_alu instid0(VALU_DEP_3) | instskip(NEXT) | instid1(VALU_DEP_3)
	v_add_f64_e64 v[84:85], v[84:85], -v[86:87]
	v_add_f64_e32 v[64:65], v[66:67], v[64:65]
	s_delay_alu instid0(VALU_DEP_2)
	v_add_f64_e32 v[70:71], v[84:85], v[70:71]
	s_wait_loadcnt 0x0
	v_add_f64_e64 v[76:77], v[76:77], -v[80:81]
	scratch_load_b64 v[80:81], off, off offset:168 th:TH_LOAD_LU ; 8-byte Folded Reload
	v_add_f64_e32 v[68:69], v[76:77], v[70:71]
	scratch_load_b64 v[76:77], off, off offset:176 th:TH_LOAD_LU ; 8-byte Folded Reload
	v_mul_f64_e32 v[70:71], s[26:27], v[159:160]
	v_add_f64_e32 v[66:67], v[78:79], v[68:69]
	v_mul_f64_e32 v[68:69], s[26:27], v[149:150]
	s_wait_loadcnt 0x1
	v_add_f64_e32 v[74:75], v[80:81], v[74:75]
	scratch_load_b64 v[80:81], off, off offset:136 th:TH_LOAD_LU ; 8-byte Folded Reload
	s_wait_loadcnt 0x1
	v_add_f64_e32 v[70:71], v[76:77], v[70:71]
	scratch_load_b64 v[76:77], off, off offset:160 th:TH_LOAD_LU ; 8-byte Folded Reload
	v_add_f64_e32 v[64:65], v[74:75], v[64:65]
	s_wait_loadcnt 0x1
	v_add_f64_e64 v[72:73], v[72:73], -v[80:81]
	s_wait_loadcnt 0x0
	v_add_f64_e64 v[68:69], v[68:69], -v[76:77]
	s_delay_alu instid0(VALU_DEP_2) | instskip(NEXT) | instid1(VALU_DEP_4)
	v_add_f64_e32 v[72:73], v[72:73], v[66:67]
	v_add_f64_e32 v[66:67], v[70:71], v[64:65]
	s_delay_alu instid0(VALU_DEP_2) | instskip(SKIP_3) | instid1(VALU_DEP_1)
	v_add_f64_e32 v[64:65], v[68:69], v[72:73]
	scratch_load_b32 v69, off, off          ; 4-byte Folded Reload
	v_and_b32_e32 v68, 0xffff, v194
	s_wait_loadcnt 0x0
	v_add_lshl_u32 v68, v69, v68, 4
	ds_store_b128 v68, v[40:43] offset:32
	ds_store_b128 v68, v[24:27] offset:160
	;; [unrolled: 1-line block ×15, first 2 shown]
	ds_store_b128 v68, v[32:35]
	ds_store_b128 v68, v[0:3] offset:256
.LBB0_7:
	s_or_b32 exec_lo, exec_lo, s33
	v_mad_co_u64_u32 v[32:33], null, 0x90, v193, s[0:1]
	s_load_b128 s[0:3], s[2:3], 0x0
	global_wb scope:SCOPE_SE
	s_wait_dscnt 0x0
	s_wait_kmcnt 0x0
	s_barrier_signal -1
	s_barrier_wait -1
	global_inv scope:SCOPE_SE
	s_mov_b32 s6, 0x134454ff
	s_clause 0x8
	global_load_b128 v[203:206], v[32:33], off offset:32
	global_load_b128 v[211:214], v[32:33], off offset:64
	;; [unrolled: 1-line block ×4, first 2 shown]
	global_load_b128 v[181:184], v[32:33], off
	global_load_b128 v[199:202], v[32:33], off offset:16
	global_load_b128 v[195:198], v[32:33], off offset:48
	global_load_b128 v[189:192], v[32:33], off offset:80
	global_load_b128 v[185:188], v[32:33], off offset:112
	scratch_load_b32 v28, off, off th:TH_LOAD_LU ; 4-byte Folded Reload
	s_mov_b32 s7, 0x3fee6f0e
	s_mov_b32 s5, 0xbfee6f0e
	s_wait_alu 0xfffe
	s_mov_b32 s4, s6
	s_mov_b32 s14, 0x4755a5e
	;; [unrolled: 1-line block ×4, first 2 shown]
	s_wait_alu 0xfffe
	s_mov_b32 s10, s14
	s_mov_b32 s16, 0x372fe950
	;; [unrolled: 1-line block ×5, first 2 shown]
	s_wait_loadcnt 0x0
	v_add_lshl_u32 v122, v28, v193, 4
	ds_load_b128 v[64:67], v122 offset:816
	ds_load_b128 v[68:71], v122 offset:1360
	;; [unrolled: 1-line block ×6, first 2 shown]
	s_wait_dscnt 0x5
	v_mul_f64_e32 v[88:89], v[66:67], v[205:206]
	v_mul_f64_e32 v[90:91], v[64:65], v[205:206]
	s_wait_dscnt 0x4
	v_mul_f64_e32 v[92:93], v[70:71], v[213:214]
	v_mul_f64_e32 v[94:95], v[68:69], v[213:214]
	s_wait_dscnt 0x3
	v_mul_f64_e32 v[96:97], v[72:73], v[209:210]
	s_wait_dscnt 0x2
	v_mul_f64_e32 v[98:99], v[76:77], v[217:218]
	v_mul_f64_e32 v[100:101], v[78:79], v[217:218]
	;; [unrolled: 1-line block ×3, first 2 shown]
	s_wait_dscnt 0x1
	v_mul_f64_e32 v[104:105], v[82:83], v[183:184]
	v_mul_f64_e32 v[106:107], v[80:81], v[183:184]
	v_fma_f64 v[88:89], v[64:65], v[203:204], -v[88:89]
	v_fma_f64 v[90:91], v[66:67], v[203:204], v[90:91]
	v_fma_f64 v[92:93], v[68:69], v[211:212], -v[92:93]
	v_fma_f64 v[94:95], v[70:71], v[211:212], v[94:95]
	v_fma_f64 v[96:97], v[74:75], v[207:208], v[96:97]
	;; [unrolled: 1-line block ×3, first 2 shown]
	v_fma_f64 v[76:77], v[76:77], v[215:216], -v[100:101]
	v_fma_f64 v[98:99], v[72:73], v[207:208], -v[102:103]
	ds_load_b128 v[64:67], v122 offset:1088
	ds_load_b128 v[68:71], v122 offset:1632
	;; [unrolled: 1-line block ×3, first 2 shown]
	scratch_load_b32 v28, off, off offset:20 ; 4-byte Folded Reload
	s_wait_dscnt 0x3
	v_mul_f64_e32 v[100:101], v[86:87], v[201:202]
	v_mul_f64_e32 v[102:103], v[84:85], v[201:202]
	v_fma_f64 v[80:81], v[80:81], v[181:182], -v[104:105]
	v_fma_f64 v[82:83], v[82:83], v[181:182], v[106:107]
	s_wait_dscnt 0x2
	v_mul_f64_e32 v[108:109], v[66:67], v[197:198]
	v_mul_f64_e32 v[110:111], v[64:65], v[197:198]
	s_wait_dscnt 0x1
	v_mul_f64_e32 v[112:113], v[70:71], v[191:192]
	s_wait_dscnt 0x0
	v_mul_f64_e32 v[114:115], v[74:75], v[187:188]
	v_mul_f64_e32 v[116:117], v[68:69], v[191:192]
	;; [unrolled: 1-line block ×3, first 2 shown]
	v_add_f64_e64 v[131:132], v[88:89], -v[92:93]
	v_add_f64_e64 v[135:136], v[92:93], -v[88:89]
	v_add_f64_e32 v[104:105], v[94:95], v[96:97]
	v_add_f64_e32 v[106:107], v[90:91], v[78:79]
	;; [unrolled: 1-line block ×4, first 2 shown]
	v_add_f64_e64 v[133:134], v[76:77], -v[98:99]
	v_add_f64_e64 v[137:138], v[98:99], -v[76:77]
	v_fma_f64 v[84:85], v[84:85], v[199:200], -v[100:101]
	v_fma_f64 v[86:87], v[86:87], v[199:200], v[102:103]
	v_add_f64_e64 v[139:140], v[90:91], -v[94:95]
	v_add_f64_e64 v[141:142], v[78:79], -v[96:97]
	;; [unrolled: 1-line block ×4, first 2 shown]
	v_fma_f64 v[100:101], v[64:65], v[195:196], -v[108:109]
	v_fma_f64 v[102:103], v[66:67], v[195:196], v[110:111]
	v_fma_f64 v[68:69], v[68:69], v[189:190], -v[112:113]
	v_fma_f64 v[72:73], v[72:73], v[185:186], -v[114:115]
	v_fma_f64 v[70:71], v[70:71], v[189:190], v[116:117]
	v_fma_f64 v[74:75], v[74:75], v[185:186], v[118:119]
	v_add_f64_e64 v[108:109], v[90:91], -v[78:79]
	v_add_f64_e64 v[110:111], v[94:95], -v[96:97]
	;; [unrolled: 1-line block ×4, first 2 shown]
	ds_load_b128 v[64:67], v122
	v_fma_f64 v[104:105], v[104:105], -0.5, v[82:83]
	v_fma_f64 v[106:107], v[106:107], -0.5, v[82:83]
	v_fma_f64 v[116:117], v[123:124], -0.5, v[80:81]
	v_fma_f64 v[118:119], v[125:126], -0.5, v[80:81]
	v_add_f64_e32 v[80:81], v[80:81], v[88:89]
	v_add_f64_e32 v[82:83], v[82:83], v[90:91]
	s_wait_dscnt 0x0
	v_add_f64_e32 v[155:156], v[64:65], v[84:85]
	v_add_f64_e32 v[161:162], v[66:67], v[86:87]
	;; [unrolled: 1-line block ×6, first 2 shown]
	v_add_f64_e64 v[157:158], v[86:87], -v[74:75]
	v_add_f64_e64 v[159:160], v[102:103], -v[70:71]
	v_add_f64_e64 v[163:164], v[84:85], -v[72:73]
	v_add_f64_e64 v[165:166], v[100:101], -v[68:69]
	v_fma_f64 v[147:148], v[112:113], s[4:5], v[104:105]
	v_fma_f64 v[149:150], v[114:115], s[6:7], v[106:107]
	;; [unrolled: 1-line block ×8, first 2 shown]
	v_add_f64_e32 v[80:81], v[80:81], v[92:93]
	v_add_f64_e32 v[82:83], v[82:83], v[94:95]
	v_fma_f64 v[88:89], v[123:124], -0.5, v[64:65]
	v_fma_f64 v[64:65], v[125:126], -0.5, v[64:65]
	;; [unrolled: 1-line block ×4, first 2 shown]
	v_add_f64_e32 v[123:124], v[131:132], v[133:134]
	v_add_f64_e32 v[125:126], v[135:136], v[137:138]
	;; [unrolled: 1-line block ×4, first 2 shown]
	v_add_f64_e64 v[139:140], v[74:75], -v[70:71]
	v_add_f64_e64 v[141:142], v[70:71], -v[74:75]
	s_wait_alu 0xfffe
	v_fma_f64 v[131:132], v[114:115], s[10:11], v[147:148]
	v_fma_f64 v[133:134], v[112:113], s[10:11], v[149:150]
	v_fma_f64 v[135:136], v[108:109], s[10:11], v[151:152]
	v_fma_f64 v[137:138], v[110:111], s[10:11], v[153:154]
	v_fma_f64 v[110:111], v[110:111], s[14:15], v[118:119]
	v_fma_f64 v[108:109], v[108:109], s[14:15], v[116:117]
	v_fma_f64 v[106:107], v[112:113], s[14:15], v[106:107]
	v_fma_f64 v[104:105], v[114:115], s[14:15], v[104:105]
	v_add_f64_e64 v[112:113], v[84:85], -v[100:101]
	v_add_f64_e64 v[114:115], v[72:73], -v[68:69]
	;; [unrolled: 1-line block ×6, first 2 shown]
	v_add_f64_e32 v[100:101], v[155:156], v[100:101]
	v_add_f64_e32 v[102:103], v[161:162], v[102:103]
	;; [unrolled: 1-line block ×4, first 2 shown]
	v_fma_f64 v[92:93], v[157:158], s[6:7], v[88:89]
	v_fma_f64 v[88:89], v[157:158], s[4:5], v[88:89]
	;; [unrolled: 1-line block ×16, first 2 shown]
	v_add_f64_e32 v[112:113], v[112:113], v[114:115]
	v_add_f64_e32 v[84:85], v[84:85], v[116:117]
	;; [unrolled: 1-line block ×6, first 2 shown]
	v_fma_f64 v[92:93], v[159:160], s[14:15], v[92:93]
	v_fma_f64 v[88:89], v[159:160], s[10:11], v[88:89]
	;; [unrolled: 1-line block ×8, first 2 shown]
	v_mul_f64_e32 v[100:101], s[14:15], v[131:132]
	v_mul_f64_e32 v[102:103], s[6:7], v[133:134]
	;; [unrolled: 1-line block ×8, first 2 shown]
	v_add_f64_e32 v[68:69], v[68:69], v[72:73]
	v_add_f64_e32 v[70:71], v[70:71], v[74:75]
	;; [unrolled: 1-line block ×4, first 2 shown]
	v_fma_f64 v[92:93], v[112:113], s[16:17], v[92:93]
	v_fma_f64 v[112:113], v[112:113], s[16:17], v[88:89]
	v_fma_f64 v[94:95], v[84:85], s[16:17], v[94:95]
	v_fma_f64 v[139:140], v[84:85], s[16:17], v[64:65]
	v_fma_f64 v[141:142], v[114:115], s[16:17], v[96:97]
	v_fma_f64 v[114:115], v[114:115], s[16:17], v[90:91]
	v_fma_f64 v[98:99], v[86:87], s[16:17], v[98:99]
	v_fma_f64 v[143:144], v[86:87], s[16:17], v[66:67]
	v_fma_f64 v[88:89], v[110:111], s[18:19], v[100:101]
	v_fma_f64 v[90:91], v[108:109], s[16:17], v[102:103]
	v_fma_f64 v[96:97], v[106:107], s[6:7], -v[116:117]
	v_fma_f64 v[102:103], v[104:105], s[14:15], -v[118:119]
	v_fma_f64 v[104:105], v[131:132], s[18:19], v[123:124]
	v_fma_f64 v[106:107], v[133:134], s[16:17], v[125:126]
	v_fma_f64 v[108:109], v[135:136], s[4:5], -v[127:128]
	v_fma_f64 v[110:111], v[137:138], s[10:11], -v[129:130]
	v_add_f64_e32 v[64:65], v[68:69], v[72:73]
	v_add_f64_e32 v[66:67], v[70:71], v[74:75]
	v_add_f64_e64 v[84:85], v[68:69], -v[72:73]
	v_add_f64_e64 v[86:87], v[70:71], -v[74:75]
	v_add_f64_e32 v[68:69], v[92:93], v[88:89]
	v_add_f64_e32 v[72:73], v[94:95], v[90:91]
	;; [unrolled: 1-line block ×8, first 2 shown]
	v_add_f64_e64 v[88:89], v[92:93], -v[88:89]
	v_add_f64_e64 v[92:93], v[94:95], -v[90:91]
	;; [unrolled: 1-line block ×8, first 2 shown]
	s_wait_loadcnt 0x0
	v_lshl_add_u32 v121, v193, 4, v28
	ds_store_b128 v121, v[64:67]
	ds_store_b128 v121, v[68:71] offset:272
	ds_store_b128 v121, v[72:75] offset:544
	;; [unrolled: 1-line block ×9, first 2 shown]
	global_wb scope:SCOPE_SE
	s_wait_dscnt 0x0
	s_barrier_signal -1
	s_barrier_wait -1
	global_inv scope:SCOPE_SE
	s_and_saveexec_b32 s6, vcc_lo
	s_cbranch_execz .LBB0_9
; %bb.8:
	global_load_b128 v[104:107], v255, s[8:9] offset:2720
	s_add_nc_u64 s[4:5], s[8:9], 0xaa0
	s_clause 0x9
	global_load_b128 v[108:111], v255, s[4:5] offset:160
	global_load_b128 v[112:115], v255, s[4:5] offset:320
	;; [unrolled: 1-line block ×10, first 2 shown]
	ds_load_b128 v[151:154], v121
	ds_load_b128 v[155:158], v121 offset:160
	ds_load_b128 v[159:162], v121 offset:320
	s_wait_loadcnt_dscnt 0x901
	v_mul_f64_e32 v[165:166], v[157:158], v[110:111]
	v_mul_f64_e32 v[110:111], v[155:156], v[110:111]
	;; [unrolled: 1-line block ×4, first 2 shown]
	s_delay_alu instid0(VALU_DEP_4) | instskip(NEXT) | instid1(VALU_DEP_4)
	v_fma_f64 v[155:156], v[155:156], v[108:109], -v[165:166]
	v_fma_f64 v[157:158], v[157:158], v[108:109], v[110:111]
	ds_load_b128 v[108:111], v121 offset:640
	v_fma_f64 v[151:152], v[151:152], v[104:105], -v[163:164]
	v_fma_f64 v[153:154], v[153:154], v[104:105], v[106:107]
	ds_load_b128 v[104:107], v121 offset:480
	s_wait_loadcnt_dscnt 0x802
	v_mul_f64_e32 v[163:164], v[161:162], v[114:115]
	v_mul_f64_e32 v[114:115], v[159:160], v[114:115]
	s_wait_loadcnt_dscnt 0x700
	v_mul_f64_e32 v[165:166], v[106:107], v[118:119]
	v_mul_f64_e32 v[118:119], v[104:105], v[118:119]
	s_delay_alu instid0(VALU_DEP_4) | instskip(NEXT) | instid1(VALU_DEP_4)
	v_fma_f64 v[159:160], v[159:160], v[112:113], -v[163:164]
	v_fma_f64 v[161:162], v[161:162], v[112:113], v[114:115]
	ds_load_b128 v[112:115], v121 offset:800
	s_wait_loadcnt 0x6
	v_mul_f64_e32 v[163:164], v[110:111], v[125:126]
	v_mul_f64_e32 v[125:126], v[108:109], v[125:126]
	v_fma_f64 v[104:105], v[104:105], v[116:117], -v[165:166]
	v_fma_f64 v[106:107], v[106:107], v[116:117], v[118:119]
	ds_load_b128 v[116:119], v121 offset:960
	s_wait_loadcnt_dscnt 0x501
	v_mul_f64_e32 v[165:166], v[114:115], v[129:130]
	v_mul_f64_e32 v[129:130], v[112:113], v[129:130]
	v_fma_f64 v[108:109], v[108:109], v[123:124], -v[163:164]
	v_fma_f64 v[110:111], v[110:111], v[123:124], v[125:126]
	ds_load_b128 v[123:126], v121 offset:1120
	s_wait_loadcnt_dscnt 0x401
	;; [unrolled: 6-line block ×3, first 2 shown]
	v_mul_f64_e32 v[167:168], v[125:126], v[137:138]
	v_mul_f64_e32 v[137:138], v[123:124], v[137:138]
	v_fma_f64 v[116:117], v[116:117], v[131:132], -v[163:164]
	v_fma_f64 v[118:119], v[118:119], v[131:132], v[133:134]
	ds_load_b128 v[131:134], v121 offset:1440
	global_load_b128 v[163:166], v255, s[4:5] offset:1760
	v_fma_f64 v[123:124], v[123:124], v[135:136], -v[167:168]
	v_fma_f64 v[125:126], v[125:126], v[135:136], v[137:138]
	s_wait_loadcnt_dscnt 0x301
	v_mul_f64_e32 v[135:136], v[129:130], v[141:142]
	v_mul_f64_e32 v[137:138], v[127:128], v[141:142]
	s_wait_loadcnt_dscnt 0x200
	v_mul_f64_e32 v[167:168], v[133:134], v[145:146]
	v_mul_f64_e32 v[145:146], v[131:132], v[145:146]
	s_delay_alu instid0(VALU_DEP_4) | instskip(NEXT) | instid1(VALU_DEP_4)
	v_fma_f64 v[127:128], v[127:128], v[139:140], -v[135:136]
	v_fma_f64 v[129:130], v[129:130], v[139:140], v[137:138]
	ds_load_b128 v[135:138], v121 offset:1600
	ds_load_b128 v[139:142], v121 offset:1760
	v_fma_f64 v[131:132], v[131:132], v[143:144], -v[167:168]
	v_fma_f64 v[133:134], v[133:134], v[143:144], v[145:146]
	global_load_b128 v[143:146], v255, s[4:5] offset:1920
	s_wait_loadcnt_dscnt 0x201
	v_mul_f64_e32 v[167:168], v[137:138], v[149:150]
	v_mul_f64_e32 v[149:150], v[135:136], v[149:150]
	s_delay_alu instid0(VALU_DEP_2) | instskip(NEXT) | instid1(VALU_DEP_2)
	v_fma_f64 v[135:136], v[135:136], v[147:148], -v[167:168]
	v_fma_f64 v[137:138], v[137:138], v[147:148], v[149:150]
	global_load_b128 v[147:150], v255, s[4:5] offset:2080
	s_wait_loadcnt_dscnt 0x200
	v_mul_f64_e32 v[167:168], v[141:142], v[165:166]
	v_mul_f64_e32 v[165:166], v[139:140], v[165:166]
	s_delay_alu instid0(VALU_DEP_2) | instskip(NEXT) | instid1(VALU_DEP_2)
	v_fma_f64 v[139:140], v[139:140], v[163:164], -v[167:168]
	v_fma_f64 v[141:142], v[141:142], v[163:164], v[165:166]
	ds_load_b128 v[163:166], v121 offset:1920
	ds_load_b128 v[167:170], v121 offset:2080
	s_wait_loadcnt_dscnt 0x101
	v_mul_f64_e32 v[171:172], v[165:166], v[145:146]
	v_mul_f64_e32 v[145:146], v[163:164], v[145:146]
	s_delay_alu instid0(VALU_DEP_2) | instskip(NEXT) | instid1(VALU_DEP_2)
	v_fma_f64 v[163:164], v[163:164], v[143:144], -v[171:172]
	v_fma_f64 v[165:166], v[165:166], v[143:144], v[145:146]
	s_wait_loadcnt_dscnt 0x0
	v_mul_f64_e32 v[143:144], v[169:170], v[149:150]
	v_mul_f64_e32 v[145:146], v[167:168], v[149:150]
	s_delay_alu instid0(VALU_DEP_2) | instskip(NEXT) | instid1(VALU_DEP_2)
	v_fma_f64 v[143:144], v[167:168], v[147:148], -v[143:144]
	v_fma_f64 v[145:146], v[169:170], v[147:148], v[145:146]
	s_clause 0x1
	global_load_b128 v[147:150], v255, s[4:5] offset:2240
	global_load_b128 v[167:170], v255, s[4:5] offset:2400
	ds_load_b128 v[171:174], v121 offset:2240
	ds_load_b128 v[175:178], v121 offset:2400
	s_wait_loadcnt_dscnt 0x101
	v_mul_f64_e32 v[179:180], v[173:174], v[149:150]
	v_mul_f64_e32 v[149:150], v[171:172], v[149:150]
	s_delay_alu instid0(VALU_DEP_2) | instskip(NEXT) | instid1(VALU_DEP_2)
	v_fma_f64 v[171:172], v[171:172], v[147:148], -v[179:180]
	v_fma_f64 v[173:174], v[173:174], v[147:148], v[149:150]
	s_wait_loadcnt_dscnt 0x0
	v_mul_f64_e32 v[147:148], v[177:178], v[169:170]
	v_mul_f64_e32 v[149:150], v[175:176], v[169:170]
	s_delay_alu instid0(VALU_DEP_2) | instskip(NEXT) | instid1(VALU_DEP_2)
	v_fma_f64 v[147:148], v[175:176], v[167:168], -v[147:148]
	v_fma_f64 v[149:150], v[177:178], v[167:168], v[149:150]
	global_load_b128 v[167:170], v255, s[4:5] offset:2560
	ds_load_b128 v[175:178], v121 offset:2560
	s_wait_loadcnt_dscnt 0x0
	v_mul_f64_e32 v[179:180], v[177:178], v[169:170]
	v_mul_f64_e32 v[169:170], v[175:176], v[169:170]
	s_delay_alu instid0(VALU_DEP_2) | instskip(NEXT) | instid1(VALU_DEP_2)
	v_fma_f64 v[175:176], v[175:176], v[167:168], -v[179:180]
	v_fma_f64 v[177:178], v[177:178], v[167:168], v[169:170]
	ds_store_b128 v121, v[151:154]
	ds_store_b128 v121, v[155:158] offset:160
	ds_store_b128 v121, v[159:162] offset:320
	;; [unrolled: 1-line block ×16, first 2 shown]
.LBB0_9:
	s_wait_alu 0xfffe
	s_or_b32 exec_lo, exec_lo, s6
	global_wb scope:SCOPE_SE
	s_wait_dscnt 0x0
	s_barrier_signal -1
	s_barrier_wait -1
	global_inv scope:SCOPE_SE
	s_and_saveexec_b32 s4, vcc_lo
	s_cbranch_execz .LBB0_11
; %bb.10:
	ds_load_b128 v[64:67], v121
	ds_load_b128 v[68:71], v121 offset:160
	ds_load_b128 v[72:75], v121 offset:320
	;; [unrolled: 1-line block ×16, first 2 shown]
.LBB0_11:
	s_wait_alu 0xfffe
	s_or_b32 exec_lo, exec_lo, s4
	global_wb scope:SCOPE_SE
	s_wait_dscnt 0x0
	s_barrier_signal -1
	s_barrier_wait -1
	global_inv scope:SCOPE_SE
	s_and_saveexec_b32 s33, vcc_lo
	s_cbranch_execz .LBB0_13
; %bb.12:
	v_add_f64_e32 v[106:107], v[64:65], v[68:69]
	v_add_f64_e32 v[104:105], v[66:67], v[70:71]
	v_add_f64_e64 v[36:37], v[90:91], -v[22:23]
	v_add_f64_e64 v[114:115], v[72:73], -v[4:5]
	s_mov_b32 s24, 0x6c9a05f6
	s_mov_b32 s25, 0xbfe9895b
	;; [unrolled: 1-line block ×11, first 2 shown]
	s_wait_alu 0xfffe
	s_mov_b32 s42, s26
	s_mov_b32 s16, 0x3259b75e
	s_mov_b32 s17, 0x3fb79ee6
	s_mov_b32 s44, 0x7c9e640b
	s_mov_b32 s45, 0x3feca52d
	s_mov_b32 s37, 0xbfeca52d
	s_wait_alu 0xfffe
	s_mov_b32 s36, s44
	s_mov_b32 s18, 0x2b2883cd
	s_mov_b32 s19, 0x3fdc86fa
	s_mov_b32 s34, 0x2a9d6da3
	s_mov_b32 s35, 0x3fe58eea
	s_mov_b32 s49, 0xbfe58eea
	;; [unrolled: 7-line block ×3, first 2 shown]
	s_mov_b32 s41, 0x3fd71e95
	s_mov_b32 s29, 0xbfd71e95
	s_wait_alu 0xfffe
	s_mov_b32 s28, s40
	s_mov_b32 s6, 0x910ea3b9
	s_mov_b32 s4, 0x7faef3
	v_add_f64_e32 v[106:107], v[106:107], v[72:73]
	v_add_f64_e32 v[104:105], v[104:105], v[74:75]
	;; [unrolled: 1-line block ×3, first 2 shown]
	s_mov_b32 s22, 0x370991
	s_mov_b32 s7, 0xbfeb34fa
	;; [unrolled: 1-line block ×4, first 2 shown]
	v_dual_mov_b32 v40, v181 :: v_dual_mov_b32 v41, v182
	v_dual_mov_b32 v42, v183 :: v_dual_mov_b32 v43, v184
	;; [unrolled: 1-line block ×6, first 2 shown]
	s_mov_b32 s51, 0x3fe9895b
	s_mov_b32 s50, s24
	;; [unrolled: 1-line block ×4, first 2 shown]
	v_mul_f64_e32 v[225:226], s[42:43], v[114:115]
	s_wait_alu 0xfffe
	v_mul_f64_e32 v[243:244], s[52:53], v[36:37]
	v_mul_f64_e32 v[253:254], s[24:25], v[114:115]
	scratch_store_b32 off, v194, off offset:184 ; 4-byte Folded Spill
	v_add_f64_e32 v[106:107], v[106:107], v[76:77]
	v_add_f64_e32 v[104:105], v[104:105], v[78:79]
	s_delay_alu instid0(VALU_DEP_2) | instskip(NEXT) | instid1(VALU_DEP_2)
	v_add_f64_e32 v[106:107], v[106:107], v[80:81]
	v_add_f64_e32 v[104:105], v[104:105], v[82:83]
	s_delay_alu instid0(VALU_DEP_2) | instskip(NEXT) | instid1(VALU_DEP_2)
	;; [unrolled: 3-line block ×5, first 2 shown]
	v_add_f64_e32 v[110:111], v[106:107], v[100:101]
	v_add_f64_e32 v[108:109], v[104:105], v[102:103]
	v_add_f64_e64 v[106:107], v[100:101], -v[96:97]
	v_add_f64_e32 v[104:105], v[102:103], v[98:99]
	v_add_f64_e32 v[100:101], v[100:101], v[96:97]
	v_add_f64_e64 v[102:103], v[102:103], -v[98:99]
	;; [unrolled: 3-line block ×4, first 2 shown]
	v_mul_f64_e32 v[189:190], s[26:27], v[106:107]
	v_mul_f64_e32 v[191:192], s[26:27], v[102:103]
	;; [unrolled: 1-line block ×10, first 2 shown]
	v_add_f64_e32 v[110:111], v[110:111], v[24:25]
	v_add_f64_e32 v[112:113], v[108:109], v[26:27]
	v_add_f64_e64 v[108:109], v[88:89], -v[20:21]
	v_add_f64_e32 v[26:27], v[90:91], v[22:23]
	v_add_f64_e32 v[24:25], v[88:89], v[20:21]
	v_add_f64_e64 v[90:91], v[84:85], -v[16:17]
	v_mul_f64_e32 v[245:246], s[44:45], v[98:99]
	v_mul_f64_e32 v[247:248], s[44:45], v[94:95]
	;; [unrolled: 1-line block ×5, first 2 shown]
	v_fma_f64 v[34:35], v[100:101], s[20:21], v[32:33]
	v_fma_f64 v[32:33], v[100:101], s[20:21], -v[32:33]
	v_add_f64_e32 v[110:111], v[110:111], v[20:21]
	v_add_f64_e32 v[112:113], v[112:113], v[22:23]
	;; [unrolled: 1-line block ×4, first 2 shown]
	v_add_f64_e64 v[84:85], v[86:87], -v[18:19]
	v_add_f64_e64 v[86:87], v[80:81], -v[12:13]
	v_mul_f64_e32 v[241:242], s[52:53], v[108:109]
	v_mul_f64_e32 v[52:53], s[34:35], v[90:91]
	;; [unrolled: 1-line block ×4, first 2 shown]
	v_add_f64_e32 v[110:111], v[110:111], v[16:17]
	v_add_f64_e32 v[112:113], v[112:113], v[18:19]
	;; [unrolled: 1-line block ×4, first 2 shown]
	v_add_f64_e64 v[82:83], v[82:83], -v[14:15]
	v_add_f64_e32 v[80:81], v[78:79], v[10:11]
	v_add_f64_e64 v[78:79], v[78:79], -v[10:11]
	v_mul_f64_e32 v[233:234], s[30:31], v[86:87]
	v_mul_f64_e32 v[62:63], s[40:41], v[86:87]
	;; [unrolled: 1-line block ×3, first 2 shown]
	v_add_f64_e32 v[12:13], v[110:111], v[12:13]
	v_add_f64_e32 v[14:15], v[112:113], v[14:15]
	v_add_f64_e64 v[110:111], v[76:77], -v[8:9]
	v_add_f64_e32 v[76:77], v[76:77], v[8:9]
	v_add_f64_e64 v[112:113], v[74:75], -v[6:7]
	v_add_f64_e32 v[74:75], v[74:75], v[6:7]
	v_mul_f64_e32 v[231:232], s[24:25], v[78:79]
	v_mul_f64_e32 v[235:236], s[30:31], v[82:83]
	;; [unrolled: 1-line block ×5, first 2 shown]
	v_add_f64_e32 v[8:9], v[12:13], v[8:9]
	v_add_f64_e32 v[10:11], v[14:15], v[10:11]
	;; [unrolled: 1-line block ×4, first 2 shown]
	v_mul_f64_e32 v[227:228], s[42:43], v[112:113]
	v_mul_f64_e32 v[229:230], s[24:25], v[110:111]
	v_add_f64_e32 v[4:5], v[8:9], v[4:5]
	v_add_f64_e64 v[8:9], v[68:69], -v[0:1]
	v_add_f64_e32 v[6:7], v[10:11], v[6:7]
	v_add_f64_e64 v[10:11], v[70:71], -v[2:3]
	s_delay_alu instid0(VALU_DEP_4) | instskip(NEXT) | instid1(VALU_DEP_4)
	v_add_f64_e32 v[0:1], v[4:5], v[0:1]
	v_mul_f64_e32 v[68:69], s[24:25], v[8:9]
	s_delay_alu instid0(VALU_DEP_4)
	v_add_f64_e32 v[2:3], v[6:7], v[2:3]
	v_mul_f64_e32 v[70:71], s[46:47], v[8:9]
	v_mul_f64_e32 v[145:146], s[46:47], v[10:11]
	;; [unrolled: 1-line block ×13, first 2 shown]
	v_fma_f64 v[129:130], v[12:13], s[10:11], v[68:69]
	v_fma_f64 v[68:69], v[12:13], s[10:11], -v[68:69]
	scratch_store_b128 off, v[0:3], off     ; 16-byte Folded Spill
	v_fma_f64 v[131:132], v[12:13], s[14:15], v[70:71]
	v_fma_f64 v[159:160], v[14:15], s[14:15], -v[145:146]
	v_fma_f64 v[133:134], v[12:13], s[16:17], v[116:117]
	v_fma_f64 v[161:162], v[14:15], s[16:17], -v[147:148]
	v_fma_f64 v[135:136], v[12:13], s[18:19], -v[118:119]
	v_fma_f64 v[118:119], v[12:13], s[18:19], v[118:119]
	v_fma_f64 v[163:164], v[14:15], s[18:19], v[149:150]
	v_fma_f64 v[149:150], v[14:15], s[18:19], -v[149:150]
	v_fma_f64 v[137:138], v[12:13], s[20:21], -v[123:124]
	v_fma_f64 v[123:124], v[12:13], s[20:21], v[123:124]
	v_fma_f64 v[165:166], v[14:15], s[20:21], v[151:152]
	v_fma_f64 v[151:152], v[14:15], s[20:21], -v[151:152]
	v_fma_f64 v[125:126], v[12:13], s[4:5], v[4:5]
	v_fma_f64 v[4:5], v[12:13], s[4:5], -v[4:5]
	;; [unrolled: 2-line block ×3, first 2 shown]
	v_fma_f64 v[70:71], v[12:13], s[14:15], -v[70:71]
	v_fma_f64 v[116:117], v[12:13], s[16:17], -v[116:117]
	;; [unrolled: 1-line block ×3, first 2 shown]
	v_fma_f64 v[8:9], v[12:13], s[22:23], v[8:9]
	v_mul_f64_e32 v[12:13], s[30:31], v[10:11]
	v_mul_f64_e32 v[10:11], s[28:29], v[10:11]
	v_fma_f64 v[155:156], v[14:15], s[6:7], -v[141:142]
	v_fma_f64 v[141:142], v[14:15], s[6:7], v[141:142]
	v_fma_f64 v[157:158], v[14:15], s[10:11], -v[143:144]
	v_fma_f64 v[143:144], v[14:15], s[10:11], v[143:144]
	v_fma_f64 v[145:146], v[14:15], s[14:15], v[145:146]
	;; [unrolled: 1-line block ×3, first 2 shown]
	v_add_f64_e32 v[129:130], v[66:67], v[129:130]
	v_add_f64_e32 v[0:1], v[66:67], v[68:69]
	;; [unrolled: 1-line block ×8, first 2 shown]
	v_fma_f64 v[153:154], v[14:15], s[4:5], -v[12:13]
	v_fma_f64 v[12:13], v[14:15], s[4:5], v[12:13]
	v_fma_f64 v[167:168], v[14:15], s[22:23], v[10:11]
	v_fma_f64 v[10:11], v[14:15], s[22:23], -v[10:11]
	v_add_f64_e32 v[14:15], v[66:67], v[125:126]
	v_add_f64_e32 v[155:156], v[64:65], v[155:156]
	v_add_f64_e32 v[141:142], v[64:65], v[141:142]
	v_add_f64_e32 v[157:158], v[64:65], v[157:158]
	v_add_f64_e32 v[68:69], v[64:65], v[147:148]
	v_mul_f64_e32 v[147:148], s[24:25], v[108:109]
	v_add_f64_e32 v[143:144], v[64:65], v[143:144]
	v_add_f64_e32 v[145:146], v[64:65], v[145:146]
	scratch_store_b64 off, v[0:1], off offset:176 ; 8-byte Folded Spill
	v_add_f64_e32 v[0:1], v[66:67], v[131:132]
	v_add_f64_e32 v[131:132], v[66:67], v[137:138]
	;; [unrolled: 1-line block ×6, first 2 shown]
	scratch_store_b64 off, v[0:1], off offset:168 ; 8-byte Folded Spill
	v_add_f64_e32 v[0:1], v[64:65], v[159:160]
	v_mul_f64_e32 v[159:160], s[46:47], v[84:85]
	scratch_store_b64 off, v[0:1], off offset:160 ; 8-byte Folded Spill
	v_add_f64_e32 v[0:1], v[66:67], v[133:134]
	v_add_f64_e32 v[133:134], v[66:67], v[139:140]
	;; [unrolled: 1-line block ×3, first 2 shown]
	v_mul_f64_e32 v[165:166], s[46:47], v[90:91]
	scratch_store_b64 off, v[0:1], off offset:136 ; 8-byte Folded Spill
	v_add_f64_e32 v[0:1], v[64:65], v[161:162]
	v_mul_f64_e32 v[161:162], s[30:31], v[112:113]
	scratch_store_b64 off, v[0:1], off offset:128 ; 8-byte Folded Spill
	v_add_f64_e32 v[0:1], v[66:67], v[118:119]
	scratch_store_b64 off, v[0:1], off offset:120 ; 8-byte Folded Spill
	v_add_f64_e32 v[0:1], v[64:65], v[149:150]
	v_mul_f64_e32 v[149:150], s[42:43], v[94:95]
	scratch_store_b64 off, v[0:1], off offset:112 ; 8-byte Folded Spill
	v_add_f64_e32 v[0:1], v[66:67], v[123:124]
	scratch_store_b64 off, v[0:1], off offset:88 ; 8-byte Folded Spill
	v_add_f64_e32 v[0:1], v[64:65], v[151:152]
	;; [unrolled: 2-line block ×3, first 2 shown]
	v_mul_f64_e32 v[8:9], s[40:41], v[114:115]
	v_fma_f64 v[66:67], v[26:27], s[22:23], -v[54:55]
	scratch_store_b64 off, v[0:1], off offset:72 ; 8-byte Folded Spill
	v_fma_f64 v[4:5], v[74:75], s[22:23], v[8:9]
	v_add_f64_e32 v[0:1], v[64:65], v[10:11]
	v_mul_f64_e32 v[10:11], s[40:41], v[112:113]
	v_fma_f64 v[8:9], v[74:75], s[22:23], -v[8:9]
	v_mul_f64_e32 v[64:65], s[24:25], v[36:37]
	v_add_f64_e32 v[4:5], v[4:5], v[14:15]
	v_mul_f64_e32 v[14:15], s[38:39], v[110:111]
	v_fma_f64 v[6:7], v[72:73], s[22:23], -v[10:11]
	v_fma_f64 v[10:11], v[72:73], s[22:23], v[10:11]
	v_add_f64_e32 v[8:9], v[8:9], v[153:154]
	scratch_store_b64 off, v[0:1], off offset:64 ; 8-byte Folded Spill
	v_fma_f64 v[116:117], v[80:81], s[6:7], v[14:15]
	v_add_f64_e32 v[6:7], v[6:7], v[125:126]
	v_add_f64_e32 v[10:11], v[10:11], v[12:13]
	v_fma_f64 v[12:13], v[80:81], s[6:7], -v[14:15]
	v_fma_f64 v[14:15], v[100:101], s[16:17], v[191:192]
	v_add_f64_e32 v[4:5], v[116:117], v[4:5]
	v_mul_f64_e32 v[116:117], s[38:39], v[78:79]
	s_delay_alu instid0(VALU_DEP_4) | instskip(NEXT) | instid1(VALU_DEP_2)
	v_add_f64_e32 v[8:9], v[12:13], v[8:9]
	v_fma_f64 v[118:119], v[76:77], s[6:7], -v[116:117]
	v_fma_f64 v[12:13], v[76:77], s[6:7], v[116:117]
	v_mul_f64_e32 v[116:117], s[44:45], v[114:115]
	s_delay_alu instid0(VALU_DEP_3) | instskip(SKIP_1) | instid1(VALU_DEP_4)
	v_add_f64_e32 v[6:7], v[118:119], v[6:7]
	v_mul_f64_e32 v[118:119], s[34:35], v[86:87]
	v_add_f64_e32 v[10:11], v[12:13], v[10:11]
	s_delay_alu instid0(VALU_DEP_2) | instskip(SKIP_2) | instid1(VALU_DEP_3)
	v_fma_f64 v[123:124], v[18:19], s[20:21], v[118:119]
	v_fma_f64 v[12:13], v[18:19], s[20:21], -v[118:119]
	v_mul_f64_e32 v[118:119], s[44:45], v[112:113]
	v_add_f64_e32 v[4:5], v[123:124], v[4:5]
	v_mul_f64_e32 v[123:124], s[34:35], v[82:83]
	s_delay_alu instid0(VALU_DEP_4) | instskip(NEXT) | instid1(VALU_DEP_2)
	v_add_f64_e32 v[8:9], v[12:13], v[8:9]
	v_fma_f64 v[125:126], v[16:17], s[20:21], -v[123:124]
	v_fma_f64 v[12:13], v[16:17], s[20:21], v[123:124]
	v_mul_f64_e32 v[123:124], s[42:43], v[110:111]
	s_delay_alu instid0(VALU_DEP_3) | instskip(SKIP_1) | instid1(VALU_DEP_4)
	v_add_f64_e32 v[6:7], v[125:126], v[6:7]
	v_mul_f64_e32 v[125:126], s[24:25], v[90:91]
	v_add_f64_e32 v[10:11], v[12:13], v[10:11]
	s_delay_alu instid0(VALU_DEP_2) | instskip(SKIP_3) | instid1(VALU_DEP_4)
	v_fma_f64 v[151:152], v[22:23], s[10:11], v[125:126]
	v_fma_f64 v[12:13], v[22:23], s[10:11], -v[125:126]
	v_fma_f64 v[125:126], v[80:81], s[16:17], v[123:124]
	v_fma_f64 v[123:124], v[80:81], s[16:17], -v[123:124]
	v_add_f64_e32 v[4:5], v[151:152], v[4:5]
	v_mul_f64_e32 v[151:152], s[24:25], v[84:85]
	v_add_f64_e32 v[8:9], v[12:13], v[8:9]
	s_delay_alu instid0(VALU_DEP_2) | instskip(SKIP_1) | instid1(VALU_DEP_2)
	v_fma_f64 v[167:168], v[20:21], s[10:11], -v[151:152]
	v_fma_f64 v[12:13], v[20:21], s[10:11], v[151:152]
	v_add_f64_e32 v[6:7], v[167:168], v[6:7]
	v_mul_f64_e32 v[167:168], s[44:45], v[108:109]
	s_delay_alu instid0(VALU_DEP_3) | instskip(NEXT) | instid1(VALU_DEP_2)
	v_add_f64_e32 v[10:11], v[12:13], v[10:11]
	v_fma_f64 v[181:182], v[26:27], s[18:19], v[167:168]
	v_fma_f64 v[12:13], v[26:27], s[18:19], -v[167:168]
	s_delay_alu instid0(VALU_DEP_2) | instskip(SKIP_1) | instid1(VALU_DEP_3)
	v_add_f64_e32 v[4:5], v[181:182], v[4:5]
	v_mul_f64_e32 v[181:182], s[44:45], v[36:37]
	v_add_f64_e32 v[8:9], v[12:13], v[8:9]
	s_delay_alu instid0(VALU_DEP_2) | instskip(SKIP_1) | instid1(VALU_DEP_2)
	v_fma_f64 v[183:184], v[24:25], s[18:19], -v[181:182]
	v_fma_f64 v[12:13], v[24:25], s[18:19], v[181:182]
	v_add_f64_e32 v[6:7], v[183:184], v[6:7]
	v_mul_f64_e32 v[183:184], s[46:47], v[98:99]
	s_delay_alu instid0(VALU_DEP_3) | instskip(NEXT) | instid1(VALU_DEP_2)
	v_add_f64_e32 v[10:11], v[12:13], v[10:11]
	v_fma_f64 v[185:186], v[96:97], s[14:15], v[183:184]
	v_fma_f64 v[12:13], v[96:97], s[14:15], -v[183:184]
	s_delay_alu instid0(VALU_DEP_2) | instskip(SKIP_1) | instid1(VALU_DEP_3)
	v_add_f64_e32 v[4:5], v[185:186], v[4:5]
	v_mul_f64_e32 v[185:186], s[46:47], v[94:95]
	v_add_f64_e32 v[8:9], v[12:13], v[8:9]
	s_delay_alu instid0(VALU_DEP_2) | instskip(SKIP_1) | instid1(VALU_DEP_2)
	v_fma_f64 v[187:188], v[92:93], s[14:15], -v[185:186]
	v_fma_f64 v[12:13], v[92:93], s[14:15], v[185:186]
	v_add_f64_e32 v[187:188], v[187:188], v[6:7]
	v_fma_f64 v[6:7], v[104:105], s[16:17], v[189:190]
	s_delay_alu instid0(VALU_DEP_3)
	v_add_f64_e32 v[12:13], v[12:13], v[10:11]
	v_fma_f64 v[10:11], v[104:105], s[16:17], -v[189:190]
	v_mul_f64_e32 v[189:190], s[46:47], v[106:107]
	v_mul_f64_e32 v[106:107], s[24:25], v[106:107]
	v_add_f64_e32 v[2:3], v[6:7], v[4:5]
	v_fma_f64 v[4:5], v[100:101], s[16:17], -v[191:192]
	v_mul_f64_e32 v[191:192], s[46:47], v[102:103]
	s_mov_b32 s47, 0x3fe0d888
	s_mov_b32 s46, s38
	s_wait_alu 0xfffe
	v_mul_f64_e32 v[237:238], s[46:47], v[90:91]
	v_mul_f64_e32 v[239:240], s[46:47], v[84:85]
	s_delay_alu instid0(VALU_DEP_4)
	v_add_f64_e32 v[0:1], v[4:5], v[187:188]
	v_mul_f64_e32 v[4:5], s[24:25], v[112:113]
	scratch_store_b128 off, v[0:3], off offset:32 ; 16-byte Folded Spill
	v_add_f64_e32 v[0:1], v[14:15], v[12:13]
	v_fma_f64 v[12:13], v[74:75], s[18:19], v[116:117]
	v_fma_f64 v[14:15], v[72:73], s[18:19], -v[118:119]
	v_fma_f64 v[116:117], v[74:75], s[18:19], -v[116:117]
	v_fma_f64 v[118:119], v[72:73], s[18:19], v[118:119]
	v_add_f64_e32 v[2:3], v[10:11], v[8:9]
	v_mul_f64_e32 v[8:9], s[38:39], v[94:95]
	v_fma_f64 v[10:11], v[16:17], s[14:15], v[173:174]
	v_add_f64_e32 v[12:13], v[12:13], v[127:128]
	v_add_f64_e32 v[14:15], v[14:15], v[155:156]
	;; [unrolled: 1-line block ×4, first 2 shown]
	scratch_store_b128 off, v[0:3], off offset:48 ; 16-byte Folded Spill
	v_mul_f64_e32 v[169:170], s[38:39], v[82:83]
	v_fma_f64 v[141:142], v[72:73], s[4:5], v[161:162]
	v_add_f64_e32 v[12:13], v[125:126], v[12:13]
	v_mul_f64_e32 v[125:126], s[42:43], v[78:79]
	v_add_f64_e32 v[116:117], v[123:124], v[116:117]
	s_delay_alu instid0(VALU_DEP_4) | instskip(NEXT) | instid1(VALU_DEP_3)
	v_add_f64_e32 v[68:69], v[141:142], v[68:69]
	v_fma_f64 v[127:128], v[76:77], s[16:17], -v[125:126]
	v_fma_f64 v[123:124], v[76:77], s[16:17], v[125:126]
	v_fma_f64 v[125:126], v[100:101], s[14:15], v[191:192]
	s_delay_alu instid0(VALU_DEP_3) | instskip(SKIP_1) | instid1(VALU_DEP_4)
	v_add_f64_e32 v[14:15], v[127:128], v[14:15]
	v_mul_f64_e32 v[127:128], s[50:51], v[86:87]
	v_add_f64_e32 v[118:119], v[123:124], v[118:119]
	s_delay_alu instid0(VALU_DEP_2) | instskip(SKIP_1) | instid1(VALU_DEP_2)
	v_fma_f64 v[151:152], v[18:19], s[10:11], v[127:128]
	v_fma_f64 v[123:124], v[18:19], s[10:11], -v[127:128]
	v_add_f64_e32 v[12:13], v[151:152], v[12:13]
	v_mul_f64_e32 v[151:152], s[50:51], v[82:83]
	s_delay_alu instid0(VALU_DEP_3) | instskip(NEXT) | instid1(VALU_DEP_2)
	v_add_f64_e32 v[116:117], v[123:124], v[116:117]
	v_fma_f64 v[153:154], v[16:17], s[10:11], -v[151:152]
	v_fma_f64 v[123:124], v[16:17], s[10:11], v[151:152]
	v_mul_f64_e32 v[151:152], s[52:53], v[114:115]
	s_delay_alu instid0(VALU_DEP_3) | instskip(SKIP_1) | instid1(VALU_DEP_4)
	v_add_f64_e32 v[14:15], v[153:154], v[14:15]
	v_mul_f64_e32 v[153:154], s[28:29], v[90:91]
	v_add_f64_e32 v[118:119], v[123:124], v[118:119]
	s_delay_alu instid0(VALU_DEP_2) | instskip(SKIP_2) | instid1(VALU_DEP_3)
	v_fma_f64 v[155:156], v[22:23], s[22:23], v[153:154]
	v_fma_f64 v[123:124], v[22:23], s[22:23], -v[153:154]
	v_mul_f64_e32 v[153:154], s[52:53], v[112:113]
	v_add_f64_e32 v[12:13], v[155:156], v[12:13]
	v_mul_f64_e32 v[155:156], s[28:29], v[84:85]
	s_delay_alu instid0(VALU_DEP_4) | instskip(NEXT) | instid1(VALU_DEP_2)
	v_add_f64_e32 v[116:117], v[123:124], v[116:117]
	v_fma_f64 v[167:168], v[20:21], s[22:23], -v[155:156]
	v_fma_f64 v[123:124], v[20:21], s[22:23], v[155:156]
	v_mul_f64_e32 v[155:156], s[28:29], v[110:111]
	s_delay_alu instid0(VALU_DEP_3) | instskip(SKIP_1) | instid1(VALU_DEP_4)
	v_add_f64_e32 v[14:15], v[167:168], v[14:15]
	v_mul_f64_e32 v[167:168], s[30:31], v[108:109]
	v_add_f64_e32 v[118:119], v[123:124], v[118:119]
	s_delay_alu instid0(VALU_DEP_4) | instskip(NEXT) | instid1(VALU_DEP_3)
	v_fma_f64 v[127:128], v[80:81], s[22:23], v[155:156]
	v_fma_f64 v[181:182], v[26:27], s[4:5], v[167:168]
	v_fma_f64 v[123:124], v[26:27], s[4:5], -v[167:168]
	v_mul_f64_e32 v[167:168], s[38:39], v[86:87]
	s_delay_alu instid0(VALU_DEP_3) | instskip(SKIP_1) | instid1(VALU_DEP_4)
	v_add_f64_e32 v[12:13], v[181:182], v[12:13]
	v_mul_f64_e32 v[181:182], s[30:31], v[36:37]
	v_add_f64_e32 v[116:117], v[123:124], v[116:117]
	s_delay_alu instid0(VALU_DEP_2) | instskip(SKIP_2) | instid1(VALU_DEP_3)
	v_fma_f64 v[183:184], v[24:25], s[4:5], -v[181:182]
	v_fma_f64 v[123:124], v[24:25], s[4:5], v[181:182]
	v_mul_f64_e32 v[181:182], s[26:27], v[90:91]
	v_add_f64_e32 v[14:15], v[183:184], v[14:15]
	v_mul_f64_e32 v[183:184], s[34:35], v[98:99]
	s_delay_alu instid0(VALU_DEP_4) | instskip(NEXT) | instid1(VALU_DEP_2)
	v_add_f64_e32 v[118:119], v[123:124], v[118:119]
	v_fma_f64 v[185:186], v[96:97], s[20:21], v[183:184]
	v_fma_f64 v[123:124], v[96:97], s[20:21], -v[183:184]
	v_mul_f64_e32 v[183:184], s[26:27], v[84:85]
	s_delay_alu instid0(VALU_DEP_3) | instskip(SKIP_1) | instid1(VALU_DEP_4)
	v_add_f64_e32 v[12:13], v[185:186], v[12:13]
	v_mul_f64_e32 v[185:186], s[34:35], v[94:95]
	v_add_f64_e32 v[116:117], v[123:124], v[116:117]
	s_delay_alu instid0(VALU_DEP_2) | instskip(SKIP_3) | instid1(VALU_DEP_4)
	v_fma_f64 v[187:188], v[92:93], s[20:21], -v[185:186]
	v_fma_f64 v[123:124], v[92:93], s[20:21], v[185:186]
	v_mul_f64_e32 v[185:186], s[48:49], v[108:109]
	v_mul_f64_e32 v[108:109], s[26:27], v[108:109]
	v_add_f64_e32 v[187:188], v[187:188], v[14:15]
	v_fma_f64 v[14:15], v[104:105], s[14:15], v[189:190]
	v_add_f64_e32 v[123:124], v[123:124], v[118:119]
	v_fma_f64 v[118:119], v[104:105], s[14:15], -v[189:190]
	v_mul_f64_e32 v[189:190], s[30:31], v[98:99]
	s_delay_alu instid0(VALU_DEP_4) | instskip(SKIP_4) | instid1(VALU_DEP_4)
	v_add_f64_e32 v[2:3], v[14:15], v[12:13]
	v_fma_f64 v[12:13], v[100:101], s[14:15], -v[191:192]
	v_mul_f64_e32 v[191:192], s[30:31], v[94:95]
	v_fma_f64 v[14:15], v[22:23], s[20:21], -v[52:53]
	v_mul_f64_e32 v[94:95], s[28:29], v[94:95]
	v_add_f64_e32 v[0:1], v[12:13], v[187:188]
	v_mul_f64_e32 v[187:188], s[48:49], v[36:37]
	v_mul_f64_e32 v[12:13], s[38:39], v[98:99]
	;; [unrolled: 1-line block ×3, first 2 shown]
	scratch_store_b128 off, v[0:3], off offset:96 ; 16-byte Folded Spill
	v_add_f64_e32 v[0:1], v[125:126], v[123:124]
	v_fma_f64 v[123:124], v[74:75], s[14:15], v[151:152]
	v_fma_f64 v[125:126], v[72:73], s[14:15], -v[153:154]
	v_add_f64_e32 v[2:3], v[118:119], v[116:117]
	v_dual_mov_b32 v116, v195 :: v_dual_mov_b32 v117, v196
	v_dual_mov_b32 v118, v197 :: v_dual_mov_b32 v119, v198
	v_mul_f64_e32 v[195:196], s[44:45], v[102:103]
	s_mov_b32 s45, 0x3fc7851a
	s_mov_b32 s44, s30
	v_mul_f64_e32 v[197:198], s[52:53], v[86:87]
	s_wait_alu 0xfffe
	v_mul_f64_e32 v[28:29], s[44:45], v[78:79]
	v_add_f64_e32 v[123:124], v[123:124], v[129:130]
	v_add_f64_e32 v[125:126], v[125:126], v[157:158]
	v_mul_f64_e32 v[157:158], s[28:29], v[78:79]
	scratch_store_b128 off, v[0:3], off offset:144 ; 16-byte Folded Spill
	v_mul_f64_e32 v[0:1], s[48:49], v[114:115]
	v_mul_f64_e32 v[2:3], s[38:39], v[36:37]
	v_fma_f64 v[6:7], v[18:19], s[14:15], -v[197:198]
	v_add_f64_e32 v[123:124], v[127:128], v[123:124]
	v_fma_f64 v[127:128], v[76:77], s[22:23], -v[157:158]
	scratch_store_b64 off, v[0:1], off offset:192 ; 8-byte Folded Spill
	v_add_f64_e32 v[125:126], v[127:128], v[125:126]
	v_fma_f64 v[127:128], v[18:19], s[6:7], v[167:168]
	s_delay_alu instid0(VALU_DEP_1) | instskip(SKIP_1) | instid1(VALU_DEP_1)
	v_add_f64_e32 v[123:124], v[127:128], v[123:124]
	v_fma_f64 v[127:128], v[16:17], s[6:7], -v[169:170]
	v_add_f64_e32 v[125:126], v[127:128], v[125:126]
	v_fma_f64 v[127:128], v[22:23], s[16:17], v[181:182]
	s_delay_alu instid0(VALU_DEP_1) | instskip(SKIP_1) | instid1(VALU_DEP_1)
	v_add_f64_e32 v[123:124], v[127:128], v[123:124]
	v_fma_f64 v[127:128], v[20:21], s[16:17], -v[183:184]
	;; [unrolled: 5-line block ×5, first 2 shown]
	v_add_f64_e32 v[123:124], v[123:124], v[127:128]
	v_fma_f64 v[127:128], v[74:75], s[20:21], -v[0:1]
	v_mul_f64_e32 v[0:1], s[48:49], v[112:113]
	s_delay_alu instid0(VALU_DEP_2) | instskip(SKIP_3) | instid1(VALU_DEP_2)
	v_add_f64_e32 v[127:128], v[127:128], v[133:134]
	scratch_store_b64 off, v[0:1], off offset:200 ; 8-byte Folded Spill
	v_fma_f64 v[129:130], v[72:73], s[20:21], v[0:1]
	v_mul_f64_e32 v[0:1], s[36:37], v[110:111]
	v_add_f64_e32 v[129:130], v[129:130], v[137:138]
	scratch_store_b64 off, v[0:1], off offset:208 ; 8-byte Folded Spill
	v_fma_f64 v[133:134], v[80:81], s[18:19], -v[0:1]
	v_mul_f64_e32 v[0:1], s[36:37], v[78:79]
	v_fma_f64 v[137:138], v[80:81], s[10:11], -v[229:230]
	v_mul_f64_e32 v[78:79], s[34:35], v[78:79]
	s_delay_alu instid0(VALU_DEP_4) | instskip(SKIP_3) | instid1(VALU_DEP_2)
	v_add_f64_e32 v[127:128], v[133:134], v[127:128]
	scratch_store_b64 off, v[0:1], off offset:216 ; 8-byte Folded Spill
	v_fma_f64 v[133:134], v[76:77], s[18:19], v[0:1]
	v_mul_f64_e32 v[0:1], s[42:43], v[86:87]
	v_add_f64_e32 v[129:130], v[133:134], v[129:130]
	scratch_store_b64 off, v[0:1], off offset:224 ; 8-byte Folded Spill
	v_fma_f64 v[133:134], v[18:19], s[16:17], -v[0:1]
	v_mul_f64_e32 v[0:1], s[42:43], v[82:83]
	s_delay_alu instid0(VALU_DEP_2) | instskip(NEXT) | instid1(VALU_DEP_2)
	v_add_f64_e32 v[127:128], v[133:134], v[127:128]
	v_fma_f64 v[133:134], v[16:17], s[16:17], v[0:1]
	scratch_store_b64 off, v[0:1], off offset:232 ; 8-byte Folded Spill
	v_mul_f64_e32 v[0:1], s[36:37], v[90:91]
	v_mul_f64_e32 v[90:91], s[30:31], v[90:91]
	v_add_f64_e32 v[129:130], v[133:134], v[129:130]
	v_fma_f64 v[133:134], v[22:23], s[14:15], -v[165:166]
	s_delay_alu instid0(VALU_DEP_1) | instskip(SKIP_1) | instid1(VALU_DEP_1)
	v_add_f64_e32 v[127:128], v[133:134], v[127:128]
	v_fma_f64 v[133:134], v[20:21], s[14:15], v[159:160]
	v_add_f64_e32 v[129:130], v[133:134], v[129:130]
	v_fma_f64 v[133:134], v[26:27], s[10:11], -v[147:148]
	s_delay_alu instid0(VALU_DEP_1) | instskip(SKIP_1) | instid1(VALU_DEP_1)
	v_add_f64_e32 v[127:128], v[133:134], v[127:128]
	v_fma_f64 v[133:134], v[24:25], s[10:11], v[64:65]
	v_add_f64_e32 v[129:130], v[133:134], v[129:130]
	v_fma_f64 v[133:134], v[96:97], s[6:7], -v[12:13]
	v_fma_f64 v[12:13], v[96:97], s[6:7], v[12:13]
	s_delay_alu instid0(VALU_DEP_2) | instskip(SKIP_2) | instid1(VALU_DEP_2)
	v_add_f64_e32 v[127:128], v[133:134], v[127:128]
	v_fma_f64 v[133:134], v[92:93], s[6:7], v[8:9]
	v_fma_f64 v[8:9], v[92:93], s[6:7], -v[8:9]
	v_add_f64_e32 v[133:134], v[133:134], v[129:130]
	v_fma_f64 v[129:130], v[104:105], s[4:5], -v[30:31]
	s_delay_alu instid0(VALU_DEP_1) | instskip(SKIP_1) | instid1(VALU_DEP_1)
	v_add_f64_e32 v[129:130], v[129:130], v[127:128]
	v_fma_f64 v[127:128], v[100:101], s[4:5], v[171:172]
	v_add_f64_e32 v[127:128], v[127:128], v[133:134]
	v_fma_f64 v[133:134], v[74:75], s[16:17], -v[225:226]
	s_delay_alu instid0(VALU_DEP_1) | instskip(SKIP_1) | instid1(VALU_DEP_2)
	v_add_f64_e32 v[131:132], v[133:134], v[131:132]
	v_fma_f64 v[133:134], v[72:73], s[16:17], v[227:228]
	v_add_f64_e32 v[131:132], v[137:138], v[131:132]
	s_delay_alu instid0(VALU_DEP_2) | instskip(SKIP_1) | instid1(VALU_DEP_1)
	v_add_f64_e32 v[133:134], v[133:134], v[139:140]
	v_fma_f64 v[137:138], v[76:77], s[10:11], v[231:232]
	v_add_f64_e32 v[133:134], v[137:138], v[133:134]
	v_fma_f64 v[137:138], v[18:19], s[4:5], -v[233:234]
	s_delay_alu instid0(VALU_DEP_1) | instskip(SKIP_1) | instid1(VALU_DEP_1)
	v_add_f64_e32 v[131:132], v[137:138], v[131:132]
	v_fma_f64 v[137:138], v[16:17], s[4:5], v[235:236]
	v_add_f64_e32 v[133:134], v[137:138], v[133:134]
	v_fma_f64 v[137:138], v[22:23], s[6:7], -v[237:238]
	s_delay_alu instid0(VALU_DEP_1) | instskip(SKIP_1) | instid1(VALU_DEP_1)
	;; [unrolled: 5-line block ×6, first 2 shown]
	v_add_f64_e32 v[135:136], v[137:138], v[135:136]
	v_fma_f64 v[137:138], v[72:73], s[10:11], v[4:5]
	v_add_f64_e32 v[137:138], v[137:138], v[163:164]
	v_mul_f64_e32 v[163:164], s[44:45], v[110:111]
	s_delay_alu instid0(VALU_DEP_1) | instskip(NEXT) | instid1(VALU_DEP_1)
	v_fma_f64 v[139:140], v[80:81], s[4:5], -v[163:164]
	v_add_f64_e32 v[135:136], v[139:140], v[135:136]
	v_fma_f64 v[139:140], v[76:77], s[4:5], v[28:29]
	v_fma_f64 v[28:29], v[76:77], s[4:5], -v[28:29]
	s_delay_alu instid0(VALU_DEP_3) | instskip(NEXT) | instid1(VALU_DEP_3)
	v_add_f64_e32 v[6:7], v[6:7], v[135:136]
	v_add_f64_e32 v[137:138], v[139:140], v[137:138]
	s_delay_alu instid0(VALU_DEP_2) | instskip(SKIP_1) | instid1(VALU_DEP_3)
	v_add_f64_e32 v[6:7], v[14:15], v[6:7]
	v_mul_f64_e32 v[14:15], s[34:35], v[84:85]
	v_add_f64_e32 v[10:11], v[10:11], v[137:138]
	s_delay_alu instid0(VALU_DEP_3) | instskip(NEXT) | instid1(VALU_DEP_3)
	v_add_f64_e32 v[6:7], v[66:67], v[6:7]
	v_fma_f64 v[135:136], v[20:21], s[20:21], v[14:15]
	v_mul_f64_e32 v[66:67], s[28:29], v[36:37]
	v_mul_f64_e32 v[36:37], s[26:27], v[36:37]
	v_fma_f64 v[14:15], v[20:21], s[20:21], -v[14:15]
	s_delay_alu instid0(VALU_DEP_4) | instskip(NEXT) | instid1(VALU_DEP_4)
	v_add_f64_e32 v[10:11], v[135:136], v[10:11]
	v_fma_f64 v[135:136], v[24:25], s[22:23], v[66:67]
	s_delay_alu instid0(VALU_DEP_4) | instskip(SKIP_1) | instid1(VALU_DEP_3)
	v_fma_f64 v[38:39], v[24:25], s[16:17], v[36:37]
	v_fma_f64 v[36:37], v[24:25], s[16:17], -v[36:37]
	v_add_f64_e32 v[10:11], v[135:136], v[10:11]
	v_fma_f64 v[135:136], v[96:97], s[16:17], -v[56:57]
	s_delay_alu instid0(VALU_DEP_1) | instskip(SKIP_1) | instid1(VALU_DEP_1)
	v_add_f64_e32 v[6:7], v[135:136], v[6:7]
	v_fma_f64 v[135:136], v[92:93], s[16:17], v[149:150]
	v_add_f64_e32 v[10:11], v[135:136], v[10:11]
	v_fma_f64 v[135:136], v[104:105], s[6:7], -v[58:59]
	s_delay_alu instid0(VALU_DEP_1) | instskip(SKIP_2) | instid1(VALU_DEP_2)
	v_add_f64_e32 v[137:138], v[135:136], v[6:7]
	v_mul_f64_e32 v[6:7], s[38:39], v[102:103]
	v_mul_f64_e32 v[102:103], s[24:25], v[102:103]
	v_fma_f64 v[135:136], v[100:101], s[6:7], v[6:7]
	v_fma_f64 v[6:7], v[100:101], s[6:7], -v[6:7]
	s_delay_alu instid0(VALU_DEP_2) | instskip(SKIP_1) | instid1(VALU_DEP_1)
	v_add_f64_e32 v[135:136], v[135:136], v[10:11]
	v_mul_f64_e32 v[10:11], s[30:31], v[114:115]
	v_fma_f64 v[139:140], v[74:75], s[4:5], -v[10:11]
	v_fma_f64 v[10:11], v[74:75], s[4:5], v[10:11]
	s_delay_alu instid0(VALU_DEP_2) | instskip(SKIP_2) | instid1(VALU_DEP_2)
	v_add_f64_e32 v[139:140], v[139:140], v[179:180]
	v_mul_f64_e32 v[179:180], s[52:53], v[110:111]
	v_mul_f64_e32 v[110:111], s[34:35], v[110:111]
	v_fma_f64 v[141:142], v[80:81], s[14:15], -v[179:180]
	s_delay_alu instid0(VALU_DEP_1) | instskip(SKIP_1) | instid1(VALU_DEP_1)
	v_add_f64_e32 v[139:140], v[141:142], v[139:140]
	v_fma_f64 v[141:142], v[76:77], s[14:15], v[60:61]
	v_add_f64_e32 v[68:69], v[141:142], v[68:69]
	v_fma_f64 v[141:142], v[18:19], s[22:23], -v[62:63]
	s_delay_alu instid0(VALU_DEP_1) | instskip(SKIP_1) | instid1(VALU_DEP_1)
	v_add_f64_e32 v[139:140], v[141:142], v[139:140]
	v_fma_f64 v[141:142], v[16:17], s[22:23], v[177:178]
	v_add_f64_e32 v[68:69], v[141:142], v[68:69]
	;; [unrolled: 5-line block ×5, first 2 shown]
	v_fma_f64 v[141:142], v[104:105], s[20:21], -v[223:224]
	s_delay_alu instid0(VALU_DEP_1) | instskip(NEXT) | instid1(VALU_DEP_3)
	v_add_f64_e32 v[141:142], v[141:142], v[139:140]
	v_add_f64_e32 v[139:140], v[34:35], v[68:69]
	v_mul_f64_e32 v[34:35], s[46:47], v[114:115]
	v_fma_f64 v[114:115], v[80:81], s[20:21], -v[110:111]
	s_delay_alu instid0(VALU_DEP_2) | instskip(SKIP_1) | instid1(VALU_DEP_2)
	v_fma_f64 v[68:69], v[74:75], s[6:7], -v[34:35]
	v_fma_f64 v[34:35], v[74:75], s[6:7], v[34:35]
	v_add_f64_e32 v[68:69], v[68:69], v[70:71]
	v_mul_f64_e32 v[70:71], s[46:47], v[112:113]
	s_delay_alu instid0(VALU_DEP_2) | instskip(NEXT) | instid1(VALU_DEP_2)
	v_add_f64_e32 v[68:69], v[114:115], v[68:69]
	v_fma_f64 v[112:113], v[72:73], s[6:7], v[70:71]
	v_fma_f64 v[114:115], v[76:77], s[20:21], v[78:79]
	s_delay_alu instid0(VALU_DEP_2) | instskip(SKIP_1) | instid1(VALU_DEP_2)
	v_add_f64_e32 v[112:113], v[112:113], v[145:146]
	v_mul_f64_e32 v[145:146], s[36:37], v[82:83]
	v_add_f64_e32 v[112:113], v[114:115], v[112:113]
	v_mul_f64_e32 v[114:115], s[36:37], v[86:87]
	s_delay_alu instid0(VALU_DEP_3) | instskip(NEXT) | instid1(VALU_DEP_2)
	v_fma_f64 v[82:83], v[16:17], s[18:19], v[145:146]
	v_fma_f64 v[86:87], v[18:19], s[18:19], -v[114:115]
	s_delay_alu instid0(VALU_DEP_2) | instskip(SKIP_1) | instid1(VALU_DEP_3)
	v_add_f64_e32 v[82:83], v[82:83], v[112:113]
	v_mul_f64_e32 v[112:113], s[30:31], v[84:85]
	v_add_f64_e32 v[68:69], v[86:87], v[68:69]
	v_fma_f64 v[86:87], v[22:23], s[4:5], -v[90:91]
	s_delay_alu instid0(VALU_DEP_3) | instskip(NEXT) | instid1(VALU_DEP_2)
	v_fma_f64 v[84:85], v[20:21], s[4:5], v[112:113]
	v_add_f64_e32 v[68:69], v[86:87], v[68:69]
	s_delay_alu instid0(VALU_DEP_2) | instskip(SKIP_2) | instid1(VALU_DEP_3)
	v_add_f64_e32 v[82:83], v[84:85], v[82:83]
	v_fma_f64 v[84:85], v[26:27], s[16:17], -v[108:109]
	v_fma_f64 v[86:87], v[80:81], s[22:23], -v[155:156]
	v_add_f64_e32 v[38:39], v[38:39], v[82:83]
	s_delay_alu instid0(VALU_DEP_3) | instskip(SKIP_1) | instid1(VALU_DEP_1)
	v_add_f64_e32 v[68:69], v[84:85], v[68:69]
	v_fma_f64 v[82:83], v[96:97], s[22:23], -v[98:99]
	v_add_f64_e32 v[68:69], v[82:83], v[68:69]
	v_fma_f64 v[82:83], v[92:93], s[22:23], v[94:95]
	s_delay_alu instid0(VALU_DEP_1) | instskip(SKIP_1) | instid1(VALU_DEP_1)
	v_add_f64_e32 v[38:39], v[82:83], v[38:39]
	v_fma_f64 v[82:83], v[104:105], s[10:11], -v[106:107]
	v_add_f64_e32 v[84:85], v[82:83], v[68:69]
	v_fma_f64 v[68:69], v[100:101], s[10:11], v[102:103]
	s_delay_alu instid0(VALU_DEP_1) | instskip(SKIP_3) | instid1(VALU_DEP_1)
	v_add_f64_e32 v[82:83], v[68:69], v[38:39]
	scratch_load_b64 v[68:69], off, off offset:176 th:TH_LOAD_LU ; 8-byte Folded Reload
	v_fma_f64 v[38:39], v[74:75], s[14:15], -v[151:152]
	s_wait_loadcnt 0x0
	v_add_f64_e32 v[38:39], v[38:39], v[68:69]
	v_fma_f64 v[68:69], v[72:73], s[14:15], v[153:154]
	s_delay_alu instid0(VALU_DEP_2) | instskip(NEXT) | instid1(VALU_DEP_2)
	v_add_f64_e32 v[38:39], v[86:87], v[38:39]
	v_add_f64_e32 v[68:69], v[68:69], v[143:144]
	v_fma_f64 v[86:87], v[76:77], s[22:23], v[157:158]
	v_fma_f64 v[143:144], v[100:101], s[18:19], v[195:196]
	s_delay_alu instid0(VALU_DEP_2) | instskip(SKIP_1) | instid1(VALU_DEP_1)
	v_add_f64_e32 v[68:69], v[86:87], v[68:69]
	v_fma_f64 v[86:87], v[18:19], s[6:7], -v[167:168]
	v_add_f64_e32 v[38:39], v[86:87], v[38:39]
	v_fma_f64 v[86:87], v[16:17], s[6:7], v[169:170]
	s_delay_alu instid0(VALU_DEP_1) | instskip(SKIP_1) | instid1(VALU_DEP_1)
	v_add_f64_e32 v[68:69], v[86:87], v[68:69]
	v_fma_f64 v[86:87], v[22:23], s[16:17], -v[181:182]
	v_add_f64_e32 v[38:39], v[86:87], v[38:39]
	v_fma_f64 v[86:87], v[20:21], s[16:17], v[183:184]
	v_dual_mov_b32 v184, v43 :: v_dual_mov_b32 v183, v42
	v_dual_mov_b32 v182, v41 :: v_dual_mov_b32 v181, v40
	s_delay_alu instid0(VALU_DEP_3) | instskip(SKIP_1) | instid1(VALU_DEP_1)
	v_add_f64_e32 v[68:69], v[86:87], v[68:69]
	v_fma_f64 v[86:87], v[26:27], s[20:21], -v[185:186]
	v_add_f64_e32 v[38:39], v[86:87], v[38:39]
	v_fma_f64 v[86:87], v[24:25], s[20:21], v[187:188]
	v_dual_mov_b32 v188, v47 :: v_dual_mov_b32 v187, v46
	v_dual_mov_b32 v186, v45 :: v_dual_mov_b32 v185, v44
	scratch_load_b64 v[44:45], off, off offset:160 th:TH_LOAD_LU ; 8-byte Folded Reload
	v_add_f64_e32 v[68:69], v[86:87], v[68:69]
	v_fma_f64 v[86:87], v[96:97], s[4:5], -v[189:190]
	s_delay_alu instid0(VALU_DEP_1) | instskip(SKIP_3) | instid1(VALU_DEP_3)
	v_add_f64_e32 v[38:39], v[86:87], v[38:39]
	v_fma_f64 v[86:87], v[92:93], s[4:5], v[191:192]
	v_dual_mov_b32 v192, v51 :: v_dual_mov_b32 v191, v50
	v_dual_mov_b32 v190, v49 :: v_dual_mov_b32 v189, v48
	v_add_f64_e32 v[68:69], v[86:87], v[68:69]
	v_fma_f64 v[86:87], v[104:105], s[18:19], -v[193:194]
	scratch_load_b32 v193, off, off offset:16 ; 4-byte Folded Reload
	v_add_f64_e32 v[40:41], v[143:144], v[68:69]
	v_add_f64_e32 v[42:43], v[86:87], v[38:39]
	scratch_load_b64 v[38:39], off, off offset:168 th:TH_LOAD_LU ; 8-byte Folded Reload
	v_fma_f64 v[68:69], v[80:81], s[20:21], v[110:111]
	s_wait_loadcnt 0x0
	v_add_f64_e32 v[34:35], v[34:35], v[38:39]
	v_fma_f64 v[38:39], v[72:73], s[6:7], -v[70:71]
	s_delay_alu instid0(VALU_DEP_2) | instskip(NEXT) | instid1(VALU_DEP_2)
	v_add_f64_e32 v[34:35], v[68:69], v[34:35]
	v_add_f64_e32 v[38:39], v[38:39], v[44:45]
	v_fma_f64 v[68:69], v[76:77], s[20:21], -v[78:79]
	s_delay_alu instid0(VALU_DEP_1) | instskip(SKIP_1) | instid1(VALU_DEP_1)
	v_add_f64_e32 v[38:39], v[68:69], v[38:39]
	v_fma_f64 v[68:69], v[18:19], s[18:19], v[114:115]
	v_add_f64_e32 v[34:35], v[68:69], v[34:35]
	v_fma_f64 v[68:69], v[16:17], s[18:19], -v[145:146]
	s_delay_alu instid0(VALU_DEP_1) | instskip(SKIP_1) | instid1(VALU_DEP_1)
	v_add_f64_e32 v[38:39], v[68:69], v[38:39]
	v_fma_f64 v[68:69], v[22:23], s[4:5], v[90:91]
	v_add_f64_e32 v[34:35], v[68:69], v[34:35]
	v_fma_f64 v[68:69], v[20:21], s[4:5], -v[112:113]
	s_delay_alu instid0(VALU_DEP_1) | instskip(SKIP_1) | instid1(VALU_DEP_2)
	v_add_f64_e32 v[38:39], v[68:69], v[38:39]
	v_fma_f64 v[68:69], v[26:27], s[16:17], v[108:109]
	v_add_f64_e32 v[36:37], v[36:37], v[38:39]
	s_delay_alu instid0(VALU_DEP_2) | instskip(SKIP_2) | instid1(VALU_DEP_2)
	v_add_f64_e32 v[34:35], v[68:69], v[34:35]
	v_fma_f64 v[38:39], v[96:97], s[22:23], v[98:99]
	v_fma_f64 v[68:69], v[100:101], s[10:11], -v[102:103]
	v_add_f64_e32 v[34:35], v[38:39], v[34:35]
	v_fma_f64 v[38:39], v[92:93], s[22:23], -v[94:95]
	s_delay_alu instid0(VALU_DEP_1) | instskip(SKIP_1) | instid1(VALU_DEP_2)
	v_add_f64_e32 v[36:37], v[38:39], v[36:37]
	v_fma_f64 v[38:39], v[104:105], s[10:11], v[106:107]
	v_add_f64_e32 v[106:107], v[68:69], v[36:37]
	s_delay_alu instid0(VALU_DEP_2)
	v_add_f64_e32 v[108:109], v[38:39], v[34:35]
	scratch_load_b64 v[34:35], off, off offset:136 th:TH_LOAD_LU ; 8-byte Folded Reload
	v_fma_f64 v[36:37], v[76:77], s[14:15], -v[60:61]
	s_wait_loadcnt 0x0
	v_add_f64_e32 v[10:11], v[10:11], v[34:35]
	v_fma_f64 v[34:35], v[80:81], s[14:15], v[179:180]
	s_delay_alu instid0(VALU_DEP_1) | instskip(SKIP_1) | instid1(VALU_DEP_1)
	v_add_f64_e32 v[10:11], v[34:35], v[10:11]
	v_fma_f64 v[34:35], v[18:19], s[22:23], v[62:63]
	v_add_f64_e32 v[10:11], v[34:35], v[10:11]
	v_fma_f64 v[34:35], v[22:23], s[18:19], v[0:1]
	scratch_load_b64 v[0:1], off, off offset:128 th:TH_LOAD_LU ; 8-byte Folded Reload
	v_add_f64_e32 v[10:11], v[34:35], v[10:11]
	v_fma_f64 v[34:35], v[26:27], s[6:7], v[88:89]
	s_delay_alu instid0(VALU_DEP_1) | instskip(SKIP_2) | instid1(VALU_DEP_1)
	v_add_f64_e32 v[10:11], v[34:35], v[10:11]
	v_fma_f64 v[34:35], v[72:73], s[4:5], -v[161:162]
	s_wait_loadcnt 0x0
	v_add_f64_e32 v[34:35], v[34:35], v[0:1]
	scratch_load_b64 v[0:1], off, off offset:120 th:TH_LOAD_LU ; 8-byte Folded Reload
	v_add_f64_e32 v[34:35], v[36:37], v[34:35]
	v_fma_f64 v[36:37], v[16:17], s[22:23], -v[177:178]
	s_delay_alu instid0(VALU_DEP_1) | instskip(SKIP_1) | instid1(VALU_DEP_1)
	v_add_f64_e32 v[34:35], v[36:37], v[34:35]
	v_fma_f64 v[36:37], v[20:21], s[18:19], -v[175:176]
	v_add_f64_e32 v[34:35], v[36:37], v[34:35]
	v_fma_f64 v[36:37], v[24:25], s[6:7], -v[2:3]
	scratch_load_b64 v[2:3], off, off offset:112 th:TH_LOAD_LU ; 8-byte Folded Reload
	v_add_f64_e32 v[34:35], v[36:37], v[34:35]
	v_fma_f64 v[36:37], v[96:97], s[10:11], v[219:220]
	s_delay_alu instid0(VALU_DEP_1) | instskip(SKIP_1) | instid1(VALU_DEP_1)
	v_add_f64_e32 v[10:11], v[36:37], v[10:11]
	v_fma_f64 v[36:37], v[92:93], s[10:11], -v[221:222]
	v_add_f64_e32 v[34:35], v[36:37], v[34:35]
	v_fma_f64 v[36:37], v[104:105], s[20:21], v[223:224]
	s_delay_alu instid0(VALU_DEP_2) | instskip(NEXT) | instid1(VALU_DEP_2)
	v_add_f64_e32 v[110:111], v[32:33], v[34:35]
	v_add_f64_e32 v[112:113], v[36:37], v[10:11]
	v_fma_f64 v[10:11], v[74:75], s[10:11], v[253:254]
	v_fma_f64 v[32:33], v[80:81], s[4:5], v[163:164]
	s_wait_loadcnt 0x1
	s_delay_alu instid0(VALU_DEP_2) | instskip(SKIP_2) | instid1(VALU_DEP_3)
	v_add_f64_e32 v[10:11], v[10:11], v[0:1]
	v_fma_f64 v[0:1], v[72:73], s[10:11], -v[4:5]
	v_fma_f64 v[4:5], v[104:105], s[4:5], v[30:31]
	v_add_f64_e32 v[10:11], v[32:33], v[10:11]
	s_wait_loadcnt 0x0
	s_delay_alu instid0(VALU_DEP_3)
	v_add_f64_e32 v[0:1], v[0:1], v[2:3]
	scratch_load_b64 v[2:3], off, off offset:88 th:TH_LOAD_LU ; 8-byte Folded Reload
	v_add_f64_e32 v[0:1], v[28:29], v[0:1]
	v_fma_f64 v[28:29], v[18:19], s[14:15], v[197:198]
	v_dual_mov_b32 v198, v119 :: v_dual_mov_b32 v197, v118
	v_dual_mov_b32 v196, v117 :: v_dual_mov_b32 v195, v116
	s_delay_alu instid0(VALU_DEP_3) | instskip(SKIP_1) | instid1(VALU_DEP_1)
	v_add_f64_e32 v[10:11], v[28:29], v[10:11]
	v_fma_f64 v[28:29], v[16:17], s[14:15], -v[173:174]
	v_add_f64_e32 v[0:1], v[28:29], v[0:1]
	v_fma_f64 v[28:29], v[22:23], s[20:21], v[52:53]
	s_delay_alu instid0(VALU_DEP_2) | instskip(NEXT) | instid1(VALU_DEP_2)
	v_add_f64_e32 v[0:1], v[14:15], v[0:1]
	v_add_f64_e32 v[10:11], v[28:29], v[10:11]
	v_fma_f64 v[14:15], v[26:27], s[22:23], v[54:55]
	s_delay_alu instid0(VALU_DEP_1) | instskip(SKIP_1) | instid1(VALU_DEP_1)
	v_add_f64_e32 v[10:11], v[14:15], v[10:11]
	v_fma_f64 v[14:15], v[24:25], s[22:23], -v[66:67]
	v_add_f64_e32 v[0:1], v[14:15], v[0:1]
	v_fma_f64 v[14:15], v[96:97], s[16:17], v[56:57]
	s_delay_alu instid0(VALU_DEP_1) | instskip(SKIP_1) | instid1(VALU_DEP_1)
	v_add_f64_e32 v[10:11], v[14:15], v[10:11]
	v_fma_f64 v[14:15], v[92:93], s[16:17], -v[149:150]
	v_add_f64_e32 v[0:1], v[14:15], v[0:1]
	v_fma_f64 v[14:15], v[104:105], s[6:7], v[58:59]
	s_delay_alu instid0(VALU_DEP_2) | instskip(SKIP_1) | instid1(VALU_DEP_3)
	v_add_f64_e32 v[143:144], v[6:7], v[0:1]
	v_fma_f64 v[0:1], v[74:75], s[16:17], v[225:226]
	v_add_f64_e32 v[145:146], v[14:15], v[10:11]
	v_fma_f64 v[6:7], v[72:73], s[16:17], -v[227:228]
	v_fma_f64 v[10:11], v[80:81], s[10:11], v[229:230]
	v_fma_f64 v[14:15], v[100:101], s[22:23], -v[251:252]
	s_wait_loadcnt 0x0
	v_add_f64_e32 v[0:1], v[0:1], v[2:3]
	scratch_load_b64 v[2:3], off, off offset:80 th:TH_LOAD_LU ; 8-byte Folded Reload
	v_add_f64_e32 v[0:1], v[10:11], v[0:1]
	v_fma_f64 v[10:11], v[76:77], s[10:11], -v[231:232]
	s_wait_loadcnt 0x0
	v_add_f64_e32 v[6:7], v[6:7], v[2:3]
	scratch_load_b64 v[2:3], off, off offset:200 th:TH_LOAD_LU ; 8-byte Folded Reload
	v_add_f64_e32 v[6:7], v[10:11], v[6:7]
	v_fma_f64 v[10:11], v[18:19], s[4:5], v[233:234]
	s_delay_alu instid0(VALU_DEP_1) | instskip(SKIP_1) | instid1(VALU_DEP_1)
	v_add_f64_e32 v[0:1], v[10:11], v[0:1]
	v_fma_f64 v[10:11], v[16:17], s[4:5], -v[235:236]
	v_add_f64_e32 v[6:7], v[10:11], v[6:7]
	v_fma_f64 v[10:11], v[22:23], s[6:7], v[237:238]
	s_delay_alu instid0(VALU_DEP_1) | instskip(SKIP_1) | instid1(VALU_DEP_1)
	v_add_f64_e32 v[0:1], v[10:11], v[0:1]
	v_fma_f64 v[10:11], v[20:21], s[6:7], -v[239:240]
	;; [unrolled: 5-line block ×4, first 2 shown]
	v_add_f64_e32 v[6:7], v[10:11], v[6:7]
	v_fma_f64 v[10:11], v[104:105], s[22:23], v[249:250]
	s_delay_alu instid0(VALU_DEP_2) | instskip(NEXT) | instid1(VALU_DEP_2)
	v_add_f64_e32 v[68:69], v[14:15], v[6:7]
	v_add_f64_e32 v[70:71], v[10:11], v[0:1]
	scratch_load_b64 v[0:1], off, off offset:192 th:TH_LOAD_LU ; 8-byte Folded Reload
	s_wait_loadcnt 0x1
	v_fma_f64 v[6:7], v[72:73], s[20:21], -v[2:3]
	scratch_load_b64 v[2:3], off, off offset:208 th:TH_LOAD_LU ; 8-byte Folded Reload
	s_wait_loadcnt 0x0
	v_fma_f64 v[10:11], v[80:81], s[18:19], v[2:3]
	scratch_load_b64 v[2:3], off, off offset:72 th:TH_LOAD_LU ; 8-byte Folded Reload
	v_fma_f64 v[0:1], v[74:75], s[20:21], v[0:1]
	s_wait_loadcnt 0x0
	s_delay_alu instid0(VALU_DEP_1)
	v_add_f64_e32 v[0:1], v[0:1], v[2:3]
	scratch_load_b64 v[2:3], off, off offset:216 th:TH_LOAD_LU ; 8-byte Folded Reload
	v_add_f64_e32 v[0:1], v[10:11], v[0:1]
	s_wait_loadcnt 0x0
	v_fma_f64 v[14:15], v[76:77], s[18:19], -v[2:3]
	scratch_load_b64 v[2:3], off, off offset:64 th:TH_LOAD_LU ; 8-byte Folded Reload
	s_wait_loadcnt 0x0
	v_add_f64_e32 v[6:7], v[6:7], v[2:3]
	scratch_load_b64 v[2:3], off, off offset:224 th:TH_LOAD_LU ; 8-byte Folded Reload
	v_add_f64_e32 v[6:7], v[14:15], v[6:7]
	v_fma_f64 v[14:15], v[22:23], s[14:15], v[165:166]
	s_wait_loadcnt 0x0
	v_fma_f64 v[18:19], v[18:19], s[16:17], v[2:3]
	scratch_load_b64 v[2:3], off, off offset:232 th:TH_LOAD_LU ; 8-byte Folded Reload
	v_add_f64_e32 v[0:1], v[18:19], v[0:1]
	s_delay_alu instid0(VALU_DEP_1)
	v_add_f64_e32 v[0:1], v[14:15], v[0:1]
	v_fma_f64 v[14:15], v[24:25], s[10:11], -v[64:65]
	s_wait_loadcnt 0x0
	v_fma_f64 v[10:11], v[16:17], s[16:17], -v[2:3]
	v_fma_f64 v[16:17], v[20:21], s[14:15], -v[159:160]
	;; [unrolled: 1-line block ×3, first 2 shown]
	s_delay_alu instid0(VALU_DEP_3) | instskip(SKIP_1) | instid1(VALU_DEP_2)
	v_add_f64_e32 v[6:7], v[10:11], v[6:7]
	v_fma_f64 v[10:11], v[26:27], s[10:11], v[147:148]
	v_add_f64_e32 v[6:7], v[16:17], v[6:7]
	s_delay_alu instid0(VALU_DEP_2) | instskip(NEXT) | instid1(VALU_DEP_2)
	v_add_f64_e32 v[0:1], v[10:11], v[0:1]
	v_add_f64_e32 v[6:7], v[14:15], v[6:7]
	s_delay_alu instid0(VALU_DEP_2) | instskip(NEXT) | instid1(VALU_DEP_2)
	v_add_f64_e32 v[0:1], v[12:13], v[0:1]
	v_add_f64_e32 v[6:7], v[8:9], v[6:7]
	s_delay_alu instid0(VALU_DEP_2)
	v_add_f64_e32 v[18:19], v[4:5], v[0:1]
	s_clause 0x1
	scratch_load_b32 v0, off, off offset:184 th:TH_LOAD_LU
	scratch_load_b32 v1, off, off offset:20 th:TH_LOAD_LU
	v_add_f64_e32 v[16:17], v[2:3], v[6:7]
	s_wait_loadcnt 0x1
	v_and_b32_e32 v0, 0xffff, v0
	s_wait_loadcnt 0x0
	s_delay_alu instid0(VALU_DEP_1)
	v_lshl_add_u32 v0, v0, 4, v1
	scratch_load_b128 v[1:4], off, off th:TH_LOAD_LU ; 16-byte Folded Reload
	s_wait_loadcnt 0x0
	ds_store_b128 v0, v[1:4]
	ds_store_b128 v0, v[127:130] offset:16
	ds_store_b128 v0, v[131:134] offset:32
	;; [unrolled: 1-line block ×6, first 2 shown]
	scratch_load_b128 v[1:4], off, off offset:144 th:TH_LOAD_LU ; 16-byte Folded Reload
	s_wait_loadcnt 0x0
	ds_store_b128 v0, v[1:4] offset:112
	scratch_load_b128 v[1:4], off, off offset:48 th:TH_LOAD_LU ; 16-byte Folded Reload
	s_wait_loadcnt 0x0
	ds_store_b128 v0, v[1:4] offset:128
	;; [unrolled: 3-line block ×4, first 2 shown]
	ds_store_b128 v0, v[123:126] offset:176
	ds_store_b128 v0, v[106:109] offset:192
	;; [unrolled: 1-line block ×6, first 2 shown]
.LBB0_13:
	s_or_b32 exec_lo, exec_lo, s33
	global_wb scope:SCOPE_SE
	s_wait_storecnt_dscnt 0x0
	s_barrier_signal -1
	s_barrier_wait -1
	global_inv scope:SCOPE_SE
	ds_load_b128 v[0:3], v122 offset:816
	ds_load_b128 v[4:7], v122 offset:1360
	;; [unrolled: 1-line block ×6, first 2 shown]
	s_mov_b32 s10, 0x134454ff
	s_mov_b32 s11, 0xbfee6f0e
	;; [unrolled: 1-line block ×3, first 2 shown]
	s_wait_alu 0xfffe
	s_mov_b32 s4, s10
	s_mov_b32 s16, 0x4755a5e
	;; [unrolled: 1-line block ×4, first 2 shown]
	s_wait_alu 0xfffe
	s_mov_b32 s6, s16
	s_mov_b32 s14, 0x372fe950
	;; [unrolled: 1-line block ×6, first 2 shown]
	s_wait_alu 0xfffe
	s_mov_b32 s20, s14
	s_mov_b32 s23, 0xbfe9e377
	s_wait_dscnt 0x5
	v_mul_f64_e32 v[24:25], v[205:206], v[0:1]
	s_wait_dscnt 0x4
	v_mul_f64_e32 v[26:27], v[213:214], v[4:5]
	;; [unrolled: 2-line block ×5, first 2 shown]
	v_mul_f64_e32 v[34:35], v[205:206], v[2:3]
	v_mul_f64_e32 v[36:37], v[213:214], v[6:7]
	;; [unrolled: 1-line block ×5, first 2 shown]
	s_mov_b32 s22, s18
	v_fma_f64 v[54:55], v[203:204], v[2:3], -v[24:25]
	v_fma_f64 v[6:7], v[211:212], v[6:7], -v[26:27]
	;; [unrolled: 1-line block ×4, first 2 shown]
	ds_load_b128 v[24:27], v122 offset:1088
	ds_load_b128 v[62:65], v122 offset:1632
	;; [unrolled: 1-line block ×3, first 2 shown]
	s_wait_dscnt 0x3
	v_mul_f64_e32 v[28:29], v[201:202], v[20:21]
	v_fma_f64 v[34:35], v[203:204], v[0:1], v[34:35]
	v_fma_f64 v[4:5], v[211:212], v[4:5], v[36:37]
	;; [unrolled: 1-line block ×4, first 2 shown]
	v_fma_f64 v[18:19], v[181:182], v[18:19], -v[32:33]
	v_mul_f64_e32 v[2:3], v[201:202], v[22:23]
	v_fma_f64 v[16:17], v[181:182], v[16:17], v[74:75]
	s_wait_dscnt 0x2
	v_mul_f64_e32 v[30:31], v[197:198], v[26:27]
	v_mul_f64_e32 v[42:43], v[197:198], v[24:25]
	s_wait_dscnt 0x1
	v_mul_f64_e32 v[46:47], v[191:192], v[64:65]
	v_mul_f64_e32 v[70:71], v[191:192], v[62:63]
	;; [unrolled: 3-line block ×3, first 2 shown]
	v_add_f64_e32 v[0:1], v[6:7], v[10:11]
	v_add_f64_e32 v[32:33], v[54:55], v[14:15]
	v_add_f64_e64 v[60:61], v[54:55], -v[14:15]
	v_fma_f64 v[22:23], v[199:200], v[22:23], -v[28:29]
	v_add_f64_e64 v[84:85], v[34:35], -v[4:5]
	v_add_f64_e32 v[40:41], v[4:5], v[8:9]
	v_add_f64_e64 v[44:45], v[34:35], -v[12:13]
	v_add_f64_e64 v[86:87], v[12:13], -v[8:9]
	v_fma_f64 v[20:21], v[199:200], v[20:21], v[2:3]
	v_add_f64_e64 v[88:89], v[8:9], -v[12:13]
	v_fma_f64 v[24:25], v[195:196], v[24:25], v[30:31]
	v_fma_f64 v[26:27], v[195:196], v[26:27], -v[42:43]
	v_fma_f64 v[28:29], v[189:190], v[62:63], v[46:47]
	v_fma_f64 v[36:37], v[189:190], v[64:65], -v[70:71]
	v_fma_f64 v[38:39], v[185:186], v[68:69], -v[72:73]
	v_add_f64_e32 v[42:43], v[34:35], v[12:13]
	v_fma_f64 v[30:31], v[185:186], v[66:67], v[58:59]
	v_add_f64_e64 v[46:47], v[4:5], -v[8:9]
	v_add_f64_e64 v[62:63], v[54:55], -v[6:7]
	;; [unrolled: 1-line block ×6, first 2 shown]
	v_fma_f64 v[48:49], v[0:1], -0.5, v[18:19]
	v_fma_f64 v[32:33], v[32:33], -0.5, v[18:19]
	ds_load_b128 v[0:3], v122
	v_add_f64_e32 v[18:19], v[18:19], v[54:55]
	v_fma_f64 v[40:41], v[40:41], -0.5, v[16:17]
	v_add_f64_e64 v[90:91], v[22:23], -v[26:27]
	v_add_f64_e32 v[50:51], v[24:25], v[28:29]
	v_add_f64_e32 v[56:57], v[26:27], v[36:37]
	;; [unrolled: 1-line block ×3, first 2 shown]
	v_fma_f64 v[42:43], v[42:43], -0.5, v[16:17]
	v_add_f64_e32 v[52:53], v[20:21], v[30:31]
	s_wait_dscnt 0x0
	v_add_f64_e32 v[76:77], v[0:1], v[20:21]
	v_add_f64_e32 v[82:83], v[2:3], v[22:23]
	;; [unrolled: 1-line block ×3, first 2 shown]
	v_add_f64_e64 v[78:79], v[22:23], -v[38:39]
	v_add_f64_e64 v[34:35], v[4:5], -v[34:35]
	;; [unrolled: 1-line block ×7, first 2 shown]
	v_fma_f64 v[72:73], v[44:45], s[4:5], v[48:49]
	v_fma_f64 v[74:75], v[46:47], s[10:11], v[32:33]
	;; [unrolled: 1-line block ×4, first 2 shown]
	v_add_f64_e32 v[6:7], v[18:19], v[6:7]
	v_fma_f64 v[50:51], v[50:51], -0.5, v[0:1]
	v_fma_f64 v[56:57], v[56:57], -0.5, v[2:3]
	;; [unrolled: 1-line block ×3, first 2 shown]
	v_add_f64_e32 v[58:59], v[62:63], v[64:65]
	v_add_f64_e32 v[62:63], v[66:67], v[68:69]
	v_fma_f64 v[64:65], v[60:61], s[10:11], v[40:41]
	v_fma_f64 v[40:41], v[60:61], s[4:5], v[40:41]
	;; [unrolled: 1-line block ×4, first 2 shown]
	v_fma_f64 v[0:1], v[52:53], -0.5, v[0:1]
	v_add_f64_e64 v[52:53], v[24:25], -v[28:29]
	v_add_f64_e32 v[26:27], v[82:83], v[26:27]
	v_add_f64_e32 v[4:5], v[16:17], v[4:5]
	;; [unrolled: 1-line block ×5, first 2 shown]
	v_fma_f64 v[68:69], v[46:47], s[6:7], v[72:73]
	v_fma_f64 v[72:73], v[44:45], s[6:7], v[74:75]
	;; [unrolled: 1-line block ×4, first 2 shown]
	v_add_f64_e64 v[46:47], v[20:21], -v[24:25]
	v_add_f64_e64 v[20:21], v[24:25], -v[20:21]
	v_add_f64_e32 v[24:25], v[76:77], v[24:25]
	v_add_f64_e64 v[48:49], v[30:31], -v[28:29]
	v_add_f64_e64 v[74:75], v[28:29], -v[30:31]
	v_add_f64_e32 v[6:7], v[6:7], v[10:11]
	v_fma_f64 v[18:19], v[78:79], s[10:11], v[50:51]
	v_fma_f64 v[82:83], v[54:55], s[4:5], v[56:57]
	;; [unrolled: 1-line block ×12, first 2 shown]
	v_add_f64_e32 v[26:27], v[26:27], v[36:37]
	v_add_f64_e32 v[4:5], v[4:5], v[8:9]
	v_fma_f64 v[60:61], v[58:59], s[14:15], v[68:69]
	v_fma_f64 v[68:69], v[62:63], s[14:15], v[72:73]
	v_fma_f64 v[32:33], v[62:63], s[14:15], v[32:33]
	v_fma_f64 v[44:45], v[58:59], s[14:15], v[44:45]
	v_add_f64_e32 v[24:25], v[24:25], v[28:29]
	v_add_f64_e32 v[46:47], v[46:47], v[48:49]
	;; [unrolled: 1-line block ×5, first 2 shown]
	v_fma_f64 v[8:9], v[80:81], s[16:17], v[18:19]
	v_fma_f64 v[28:29], v[52:53], s[6:7], v[82:83]
	;; [unrolled: 1-line block ×12, first 2 shown]
	v_add_f64_e32 v[26:27], v[26:27], v[38:39]
	v_add_f64_e32 v[4:5], v[4:5], v[12:13]
	v_mul_f64_e32 v[42:43], s[16:17], v[60:61]
	v_mul_f64_e32 v[60:61], s[18:19], v[60:61]
	;; [unrolled: 1-line block ×5, first 2 shown]
	s_wait_alu 0xfffe
	v_mul_f64_e32 v[32:33], s[20:21], v[32:33]
	v_mul_f64_e32 v[58:59], s[16:17], v[44:45]
	;; [unrolled: 1-line block ×3, first 2 shown]
	v_add_f64_e32 v[24:25], v[24:25], v[30:31]
	v_fma_f64 v[30:31], v[46:47], s[14:15], v[8:9]
	v_fma_f64 v[66:67], v[48:49], s[14:15], v[28:29]
	;; [unrolled: 1-line block ×8, first 2 shown]
	v_add_f64_e32 v[2:3], v[26:27], v[6:7]
	v_add_f64_e64 v[6:7], v[26:27], -v[6:7]
	v_fma_f64 v[28:29], v[52:53], s[18:19], v[42:43]
	v_fma_f64 v[52:53], v[52:53], s[6:7], v[60:61]
	;; [unrolled: 1-line block ×8, first 2 shown]
	v_add_f64_e32 v[0:1], v[24:25], v[4:5]
	v_add_f64_e64 v[4:5], v[24:25], -v[4:5]
	v_add_f64_e32 v[8:9], v[30:31], v[28:29]
	v_add_f64_e32 v[10:11], v[66:67], v[52:53]
	;; [unrolled: 1-line block ×8, first 2 shown]
	v_add_f64_e64 v[24:25], v[30:31], -v[28:29]
	v_add_f64_e64 v[26:27], v[66:67], -v[52:53]
	;; [unrolled: 1-line block ×8, first 2 shown]
	ds_store_b128 v121, v[0:3]
	ds_store_b128 v121, v[8:11] offset:272
	ds_store_b128 v121, v[12:15] offset:544
	;; [unrolled: 1-line block ×9, first 2 shown]
	global_wb scope:SCOPE_SE
	s_wait_dscnt 0x0
	s_barrier_signal -1
	s_barrier_wait -1
	global_inv scope:SCOPE_SE
	s_and_b32 exec_lo, exec_lo, vcc_lo
	s_cbranch_execz .LBB0_15
; %bb.14:
	global_load_b128 v[0:3], v255, s[8:9]
	ds_load_b128 v[4:7], v121
	ds_load_b128 v[8:11], v121 offset:160
	s_mov_b32 s4, 0x18181818
	s_mov_b32 s5, 0x3f781818
	s_wait_loadcnt_dscnt 0x1
	v_mul_f64_e32 v[12:13], v[6:7], v[2:3]
	v_mul_f64_e32 v[2:3], v[4:5], v[2:3]
	s_delay_alu instid0(VALU_DEP_2) | instskip(NEXT) | instid1(VALU_DEP_2)
	v_fma_f64 v[4:5], v[4:5], v[0:1], v[12:13]
	v_fma_f64 v[0:1], v[0:1], v[6:7], -v[2:3]
	v_mad_co_u64_u32 v[6:7], null, s2, v120, 0
	v_mad_co_u64_u32 v[12:13], null, s0, v193, 0
	s_wait_alu 0xfffe
	s_delay_alu instid0(VALU_DEP_4) | instskip(NEXT) | instid1(VALU_DEP_4)
	v_mul_f64_e32 v[2:3], s[4:5], v[4:5]
	v_mul_f64_e32 v[4:5], s[4:5], v[0:1]
	s_delay_alu instid0(VALU_DEP_3) | instskip(NEXT) | instid1(VALU_DEP_1)
	v_dual_mov_b32 v0, v7 :: v_dual_mov_b32 v1, v13
	v_mad_co_u64_u32 v[13:14], null, s3, v120, v[0:1]
	s_mul_u64 s[2:3], s[0:1], 0xa0
	s_delay_alu instid0(VALU_DEP_1) | instskip(SKIP_1) | instid1(VALU_DEP_1)
	v_mov_b32_e32 v7, v13
	v_mad_co_u64_u32 v[0:1], null, s1, v193, v[1:2]
	v_mov_b32_e32 v13, v0
	s_delay_alu instid0(VALU_DEP_3) | instskip(NEXT) | instid1(VALU_DEP_2)
	v_lshlrev_b64_e32 v[0:1], 4, v[6:7]
	v_lshlrev_b64_e32 v[6:7], 4, v[12:13]
	s_delay_alu instid0(VALU_DEP_2) | instskip(NEXT) | instid1(VALU_DEP_3)
	v_add_co_u32 v0, vcc_lo, s12, v0
	v_add_co_ci_u32_e32 v1, vcc_lo, s13, v1, vcc_lo
	s_delay_alu instid0(VALU_DEP_2) | instskip(SKIP_1) | instid1(VALU_DEP_2)
	v_add_co_u32 v6, vcc_lo, v0, v6
	s_wait_alu 0xfffd
	v_add_co_ci_u32_e32 v7, vcc_lo, v1, v7, vcc_lo
	s_wait_alu 0xfffe
	s_delay_alu instid0(VALU_DEP_2)
	v_add_co_u32 v14, vcc_lo, v6, s2
	global_store_b128 v[6:7], v[2:5], off
	global_load_b128 v[2:5], v255, s[8:9] offset:160
	s_wait_alu 0xfffd
	v_add_co_ci_u32_e32 v15, vcc_lo, s3, v7, vcc_lo
	s_wait_loadcnt_dscnt 0x0
	v_mul_f64_e32 v[12:13], v[10:11], v[4:5]
	v_mul_f64_e32 v[4:5], v[8:9], v[4:5]
	s_delay_alu instid0(VALU_DEP_2) | instskip(NEXT) | instid1(VALU_DEP_2)
	v_fma_f64 v[8:9], v[8:9], v[2:3], v[12:13]
	v_fma_f64 v[4:5], v[2:3], v[10:11], -v[4:5]
	s_delay_alu instid0(VALU_DEP_2) | instskip(NEXT) | instid1(VALU_DEP_2)
	v_mul_f64_e32 v[2:3], s[4:5], v[8:9]
	v_mul_f64_e32 v[4:5], s[4:5], v[4:5]
	global_store_b128 v[14:15], v[2:5], off
	global_load_b128 v[2:5], v255, s[8:9] offset:320
	ds_load_b128 v[6:9], v121 offset:320
	ds_load_b128 v[10:13], v121 offset:480
	s_wait_loadcnt_dscnt 0x1
	v_mul_f64_e32 v[16:17], v[8:9], v[4:5]
	v_mul_f64_e32 v[4:5], v[6:7], v[4:5]
	s_delay_alu instid0(VALU_DEP_2) | instskip(NEXT) | instid1(VALU_DEP_2)
	v_fma_f64 v[6:7], v[6:7], v[2:3], v[16:17]
	v_fma_f64 v[4:5], v[2:3], v[8:9], -v[4:5]
	s_delay_alu instid0(VALU_DEP_2) | instskip(NEXT) | instid1(VALU_DEP_2)
	v_mul_f64_e32 v[2:3], s[4:5], v[6:7]
	v_mul_f64_e32 v[4:5], s[4:5], v[4:5]
	v_add_co_u32 v6, vcc_lo, v14, s2
	s_wait_alu 0xfffd
	v_add_co_ci_u32_e32 v7, vcc_lo, s3, v15, vcc_lo
	s_delay_alu instid0(VALU_DEP_2) | instskip(SKIP_1) | instid1(VALU_DEP_2)
	v_add_co_u32 v14, vcc_lo, v6, s2
	s_wait_alu 0xfffd
	v_add_co_ci_u32_e32 v15, vcc_lo, s3, v7, vcc_lo
	global_store_b128 v[6:7], v[2:5], off
	global_load_b128 v[2:5], v255, s[8:9] offset:480
	s_wait_loadcnt_dscnt 0x0
	v_mul_f64_e32 v[8:9], v[12:13], v[4:5]
	v_mul_f64_e32 v[4:5], v[10:11], v[4:5]
	s_delay_alu instid0(VALU_DEP_2) | instskip(NEXT) | instid1(VALU_DEP_2)
	v_fma_f64 v[8:9], v[10:11], v[2:3], v[8:9]
	v_fma_f64 v[4:5], v[2:3], v[12:13], -v[4:5]
	s_delay_alu instid0(VALU_DEP_2) | instskip(NEXT) | instid1(VALU_DEP_2)
	v_mul_f64_e32 v[2:3], s[4:5], v[8:9]
	v_mul_f64_e32 v[4:5], s[4:5], v[4:5]
	global_store_b128 v[14:15], v[2:5], off
	global_load_b128 v[2:5], v255, s[8:9] offset:640
	ds_load_b128 v[6:9], v121 offset:640
	ds_load_b128 v[10:13], v121 offset:800
	s_wait_loadcnt_dscnt 0x1
	v_mul_f64_e32 v[16:17], v[8:9], v[4:5]
	v_mul_f64_e32 v[4:5], v[6:7], v[4:5]
	s_delay_alu instid0(VALU_DEP_2) | instskip(NEXT) | instid1(VALU_DEP_2)
	v_fma_f64 v[6:7], v[6:7], v[2:3], v[16:17]
	v_fma_f64 v[4:5], v[2:3], v[8:9], -v[4:5]
	s_delay_alu instid0(VALU_DEP_2) | instskip(NEXT) | instid1(VALU_DEP_2)
	v_mul_f64_e32 v[2:3], s[4:5], v[6:7]
	v_mul_f64_e32 v[4:5], s[4:5], v[4:5]
	v_add_co_u32 v6, vcc_lo, v14, s2
	s_wait_alu 0xfffd
	v_add_co_ci_u32_e32 v7, vcc_lo, s3, v15, vcc_lo
	s_delay_alu instid0(VALU_DEP_2) | instskip(SKIP_1) | instid1(VALU_DEP_2)
	v_add_co_u32 v14, vcc_lo, v6, s2
	s_wait_alu 0xfffd
	v_add_co_ci_u32_e32 v15, vcc_lo, s3, v7, vcc_lo
	global_store_b128 v[6:7], v[2:5], off
	global_load_b128 v[2:5], v255, s[8:9] offset:800
	s_wait_loadcnt_dscnt 0x0
	v_mul_f64_e32 v[8:9], v[12:13], v[4:5]
	v_mul_f64_e32 v[4:5], v[10:11], v[4:5]
	s_delay_alu instid0(VALU_DEP_2) | instskip(NEXT) | instid1(VALU_DEP_2)
	v_fma_f64 v[8:9], v[10:11], v[2:3], v[8:9]
	v_fma_f64 v[4:5], v[2:3], v[12:13], -v[4:5]
	s_delay_alu instid0(VALU_DEP_2) | instskip(NEXT) | instid1(VALU_DEP_2)
	v_mul_f64_e32 v[2:3], s[4:5], v[8:9]
	v_mul_f64_e32 v[4:5], s[4:5], v[4:5]
	global_store_b128 v[14:15], v[2:5], off
	global_load_b128 v[2:5], v255, s[8:9] offset:960
	ds_load_b128 v[6:9], v121 offset:960
	ds_load_b128 v[10:13], v121 offset:1120
	s_wait_loadcnt_dscnt 0x1
	v_mul_f64_e32 v[16:17], v[8:9], v[4:5]
	v_mul_f64_e32 v[4:5], v[6:7], v[4:5]
	s_delay_alu instid0(VALU_DEP_2) | instskip(NEXT) | instid1(VALU_DEP_2)
	v_fma_f64 v[6:7], v[6:7], v[2:3], v[16:17]
	v_fma_f64 v[4:5], v[2:3], v[8:9], -v[4:5]
	s_delay_alu instid0(VALU_DEP_2) | instskip(NEXT) | instid1(VALU_DEP_2)
	v_mul_f64_e32 v[2:3], s[4:5], v[6:7]
	v_mul_f64_e32 v[4:5], s[4:5], v[4:5]
	v_add_co_u32 v6, vcc_lo, v14, s2
	s_wait_alu 0xfffd
	v_add_co_ci_u32_e32 v7, vcc_lo, s3, v15, vcc_lo
	s_delay_alu instid0(VALU_DEP_2) | instskip(SKIP_1) | instid1(VALU_DEP_2)
	v_add_co_u32 v14, vcc_lo, v6, s2
	s_wait_alu 0xfffd
	v_add_co_ci_u32_e32 v15, vcc_lo, s3, v7, vcc_lo
	global_store_b128 v[6:7], v[2:5], off
	global_load_b128 v[2:5], v255, s[8:9] offset:1120
	s_wait_loadcnt_dscnt 0x0
	v_mul_f64_e32 v[8:9], v[12:13], v[4:5]
	v_mul_f64_e32 v[4:5], v[10:11], v[4:5]
	s_delay_alu instid0(VALU_DEP_2) | instskip(NEXT) | instid1(VALU_DEP_2)
	v_fma_f64 v[8:9], v[10:11], v[2:3], v[8:9]
	v_fma_f64 v[4:5], v[2:3], v[12:13], -v[4:5]
	s_delay_alu instid0(VALU_DEP_2) | instskip(NEXT) | instid1(VALU_DEP_2)
	v_mul_f64_e32 v[2:3], s[4:5], v[8:9]
	v_mul_f64_e32 v[4:5], s[4:5], v[4:5]
	global_store_b128 v[14:15], v[2:5], off
	global_load_b128 v[2:5], v255, s[8:9] offset:1280
	ds_load_b128 v[6:9], v121 offset:1280
	ds_load_b128 v[10:13], v121 offset:1440
	v_mad_co_u64_u32 v[14:15], null, 0x140, s0, v[14:15]
	s_wait_loadcnt_dscnt 0x1
	v_mul_f64_e32 v[16:17], v[8:9], v[4:5]
	v_mul_f64_e32 v[4:5], v[6:7], v[4:5]
	s_delay_alu instid0(VALU_DEP_2) | instskip(SKIP_3) | instid1(VALU_DEP_2)
	v_fma_f64 v[6:7], v[6:7], v[2:3], v[16:17]
	scratch_load_b32 v16, off, off offset:28 th:TH_LOAD_LU ; 4-byte Folded Reload
	v_fma_f64 v[4:5], v[2:3], v[8:9], -v[4:5]
	v_mul_f64_e32 v[2:3], s[4:5], v[6:7]
	v_mul_f64_e32 v[4:5], s[4:5], v[4:5]
	s_wait_loadcnt 0x0
	v_mad_co_u64_u32 v[8:9], null, s0, v16, 0
	s_delay_alu instid0(VALU_DEP_1) | instskip(NEXT) | instid1(VALU_DEP_1)
	v_mov_b32_e32 v6, v9
	v_mad_co_u64_u32 v[6:7], null, s1, v16, v[6:7]
	s_delay_alu instid0(VALU_DEP_1) | instskip(NEXT) | instid1(VALU_DEP_1)
	v_mov_b32_e32 v9, v6
	v_lshlrev_b64_e32 v[6:7], 4, v[8:9]
	s_delay_alu instid0(VALU_DEP_1) | instskip(SKIP_1) | instid1(VALU_DEP_2)
	v_add_co_u32 v6, vcc_lo, v0, v6
	s_wait_alu 0xfffd
	v_add_co_ci_u32_e32 v7, vcc_lo, v1, v7, vcc_lo
	global_store_b128 v[6:7], v[2:5], off
	global_load_b128 v[2:5], v255, s[8:9] offset:1440
	s_wait_loadcnt_dscnt 0x0
	v_mul_f64_e32 v[6:7], v[12:13], v[4:5]
	v_mul_f64_e32 v[4:5], v[10:11], v[4:5]
	s_delay_alu instid0(VALU_DEP_2) | instskip(NEXT) | instid1(VALU_DEP_2)
	v_fma_f64 v[6:7], v[10:11], v[2:3], v[6:7]
	v_fma_f64 v[4:5], v[2:3], v[12:13], -v[4:5]
	s_delay_alu instid0(VALU_DEP_2) | instskip(SKIP_1) | instid1(VALU_DEP_3)
	v_mul_f64_e32 v[2:3], s[4:5], v[6:7]
	v_mov_b32_e32 v6, v15
	v_mul_f64_e32 v[4:5], s[4:5], v[4:5]
	s_delay_alu instid0(VALU_DEP_2) | instskip(NEXT) | instid1(VALU_DEP_1)
	v_mad_co_u64_u32 v[6:7], null, 0x140, s1, v[6:7]
	v_mov_b32_e32 v15, v6
	global_store_b128 v[14:15], v[2:5], off
	global_load_b128 v[2:5], v255, s[8:9] offset:1600
	ds_load_b128 v[6:9], v121 offset:1600
	ds_load_b128 v[10:13], v121 offset:1760
	s_wait_loadcnt_dscnt 0x1
	v_mul_f64_e32 v[16:17], v[8:9], v[4:5]
	v_mul_f64_e32 v[4:5], v[6:7], v[4:5]
	s_delay_alu instid0(VALU_DEP_2) | instskip(NEXT) | instid1(VALU_DEP_2)
	v_fma_f64 v[6:7], v[6:7], v[2:3], v[16:17]
	v_fma_f64 v[4:5], v[2:3], v[8:9], -v[4:5]
	s_delay_alu instid0(VALU_DEP_2) | instskip(NEXT) | instid1(VALU_DEP_2)
	v_mul_f64_e32 v[2:3], s[4:5], v[6:7]
	v_mul_f64_e32 v[4:5], s[4:5], v[4:5]
	v_add_co_u32 v6, vcc_lo, v14, s2
	s_wait_alu 0xfffd
	v_add_co_ci_u32_e32 v7, vcc_lo, s3, v15, vcc_lo
	s_delay_alu instid0(VALU_DEP_2) | instskip(SKIP_1) | instid1(VALU_DEP_2)
	v_add_co_u32 v14, vcc_lo, v6, s2
	s_wait_alu 0xfffd
	v_add_co_ci_u32_e32 v15, vcc_lo, s3, v7, vcc_lo
	global_store_b128 v[6:7], v[2:5], off
	global_load_b128 v[2:5], v255, s[8:9] offset:1760
	s_wait_loadcnt_dscnt 0x0
	v_mul_f64_e32 v[8:9], v[12:13], v[4:5]
	v_mul_f64_e32 v[4:5], v[10:11], v[4:5]
	s_delay_alu instid0(VALU_DEP_2) | instskip(NEXT) | instid1(VALU_DEP_2)
	v_fma_f64 v[8:9], v[10:11], v[2:3], v[8:9]
	v_fma_f64 v[4:5], v[2:3], v[12:13], -v[4:5]
	s_delay_alu instid0(VALU_DEP_2) | instskip(NEXT) | instid1(VALU_DEP_2)
	v_mul_f64_e32 v[2:3], s[4:5], v[8:9]
	v_mul_f64_e32 v[4:5], s[4:5], v[4:5]
	global_store_b128 v[14:15], v[2:5], off
	global_load_b128 v[2:5], v255, s[8:9] offset:1920
	ds_load_b128 v[6:9], v121 offset:1920
	ds_load_b128 v[10:13], v121 offset:2080
	s_wait_loadcnt_dscnt 0x1
	v_mul_f64_e32 v[16:17], v[8:9], v[4:5]
	v_mul_f64_e32 v[4:5], v[6:7], v[4:5]
	s_delay_alu instid0(VALU_DEP_2) | instskip(NEXT) | instid1(VALU_DEP_2)
	v_fma_f64 v[6:7], v[6:7], v[2:3], v[16:17]
	v_fma_f64 v[4:5], v[2:3], v[8:9], -v[4:5]
	s_delay_alu instid0(VALU_DEP_2) | instskip(NEXT) | instid1(VALU_DEP_2)
	v_mul_f64_e32 v[2:3], s[4:5], v[6:7]
	v_mul_f64_e32 v[4:5], s[4:5], v[4:5]
	v_add_co_u32 v6, vcc_lo, v14, s2
	s_wait_alu 0xfffd
	v_add_co_ci_u32_e32 v7, vcc_lo, s3, v15, vcc_lo
	s_delay_alu instid0(VALU_DEP_2) | instskip(SKIP_1) | instid1(VALU_DEP_2)
	v_add_co_u32 v14, vcc_lo, v6, s2
	s_wait_alu 0xfffd
	v_add_co_ci_u32_e32 v15, vcc_lo, s3, v7, vcc_lo
	global_store_b128 v[6:7], v[2:5], off
	global_load_b128 v[2:5], v255, s[8:9] offset:2080
	s_wait_loadcnt_dscnt 0x0
	v_mul_f64_e32 v[8:9], v[12:13], v[4:5]
	v_mul_f64_e32 v[4:5], v[10:11], v[4:5]
	s_delay_alu instid0(VALU_DEP_2) | instskip(NEXT) | instid1(VALU_DEP_2)
	v_fma_f64 v[8:9], v[10:11], v[2:3], v[8:9]
	v_fma_f64 v[4:5], v[2:3], v[12:13], -v[4:5]
	s_delay_alu instid0(VALU_DEP_2) | instskip(NEXT) | instid1(VALU_DEP_2)
	v_mul_f64_e32 v[2:3], s[4:5], v[8:9]
	v_mul_f64_e32 v[4:5], s[4:5], v[4:5]
	global_store_b128 v[14:15], v[2:5], off
	global_load_b128 v[2:5], v255, s[8:9] offset:2240
	ds_load_b128 v[6:9], v121 offset:2240
	ds_load_b128 v[10:13], v121 offset:2400
	s_wait_loadcnt_dscnt 0x1
	v_mul_f64_e32 v[16:17], v[8:9], v[4:5]
	v_mul_f64_e32 v[4:5], v[6:7], v[4:5]
	s_delay_alu instid0(VALU_DEP_2) | instskip(NEXT) | instid1(VALU_DEP_2)
	v_fma_f64 v[6:7], v[6:7], v[2:3], v[16:17]
	v_fma_f64 v[4:5], v[2:3], v[8:9], -v[4:5]
	s_delay_alu instid0(VALU_DEP_2) | instskip(NEXT) | instid1(VALU_DEP_2)
	v_mul_f64_e32 v[2:3], s[4:5], v[6:7]
	v_mul_f64_e32 v[4:5], s[4:5], v[4:5]
	v_add_co_u32 v6, vcc_lo, v14, s2
	s_wait_alu 0xfffd
	v_add_co_ci_u32_e32 v7, vcc_lo, s3, v15, vcc_lo
	global_store_b128 v[6:7], v[2:5], off
	global_load_b128 v[2:5], v255, s[8:9] offset:2400
	v_add_co_u32 v6, vcc_lo, v6, s2
	s_wait_alu 0xfffd
	v_add_co_ci_u32_e32 v7, vcc_lo, s3, v7, vcc_lo
	s_wait_loadcnt_dscnt 0x0
	v_mul_f64_e32 v[8:9], v[12:13], v[4:5]
	v_mul_f64_e32 v[4:5], v[10:11], v[4:5]
	s_delay_alu instid0(VALU_DEP_2) | instskip(NEXT) | instid1(VALU_DEP_2)
	v_fma_f64 v[8:9], v[10:11], v[2:3], v[8:9]
	v_fma_f64 v[4:5], v[2:3], v[12:13], -v[4:5]
	s_delay_alu instid0(VALU_DEP_2) | instskip(NEXT) | instid1(VALU_DEP_2)
	v_mul_f64_e32 v[2:3], s[4:5], v[8:9]
	v_mul_f64_e32 v[4:5], s[4:5], v[4:5]
	global_store_b128 v[6:7], v[2:5], off
	global_load_b128 v[2:5], v255, s[8:9] offset:2560
	ds_load_b128 v[6:9], v121 offset:2560
	s_wait_loadcnt_dscnt 0x0
	v_mul_f64_e32 v[10:11], v[8:9], v[4:5]
	v_mul_f64_e32 v[4:5], v[6:7], v[4:5]
	s_delay_alu instid0(VALU_DEP_2) | instskip(SKIP_3) | instid1(VALU_DEP_2)
	v_fma_f64 v[6:7], v[6:7], v[2:3], v[10:11]
	scratch_load_b32 v10, off, off offset:24 th:TH_LOAD_LU ; 4-byte Folded Reload
	v_fma_f64 v[4:5], v[2:3], v[8:9], -v[4:5]
	v_mul_f64_e32 v[2:3], s[4:5], v[6:7]
	v_mul_f64_e32 v[4:5], s[4:5], v[4:5]
	s_wait_loadcnt 0x0
	v_mad_co_u64_u32 v[8:9], null, s0, v10, 0
	s_delay_alu instid0(VALU_DEP_1) | instskip(NEXT) | instid1(VALU_DEP_1)
	v_mov_b32_e32 v6, v9
	v_mad_co_u64_u32 v[6:7], null, s1, v10, v[6:7]
	s_delay_alu instid0(VALU_DEP_1) | instskip(NEXT) | instid1(VALU_DEP_1)
	v_mov_b32_e32 v9, v6
	v_lshlrev_b64_e32 v[6:7], 4, v[8:9]
	s_delay_alu instid0(VALU_DEP_1) | instskip(SKIP_1) | instid1(VALU_DEP_2)
	v_add_co_u32 v0, vcc_lo, v0, v6
	s_wait_alu 0xfffd
	v_add_co_ci_u32_e32 v1, vcc_lo, v1, v7, vcc_lo
	global_store_b128 v[0:1], v[2:5], off
.LBB0_15:
	s_nop 0
	s_sendmsg sendmsg(MSG_DEALLOC_VGPRS)
	s_endpgm
	.section	.rodata,"a",@progbits
	.p2align	6, 0x0
	.amdhsa_kernel bluestein_single_fwd_len170_dim1_dp_op_CI_CI
		.amdhsa_group_segment_fixed_size 19040
		.amdhsa_private_segment_fixed_size 596
		.amdhsa_kernarg_size 104
		.amdhsa_user_sgpr_count 2
		.amdhsa_user_sgpr_dispatch_ptr 0
		.amdhsa_user_sgpr_queue_ptr 0
		.amdhsa_user_sgpr_kernarg_segment_ptr 1
		.amdhsa_user_sgpr_dispatch_id 0
		.amdhsa_user_sgpr_private_segment_size 0
		.amdhsa_wavefront_size32 1
		.amdhsa_uses_dynamic_stack 0
		.amdhsa_enable_private_segment 1
		.amdhsa_system_sgpr_workgroup_id_x 1
		.amdhsa_system_sgpr_workgroup_id_y 0
		.amdhsa_system_sgpr_workgroup_id_z 0
		.amdhsa_system_sgpr_workgroup_info 0
		.amdhsa_system_vgpr_workitem_id 0
		.amdhsa_next_free_vgpr 256
		.amdhsa_next_free_sgpr 58
		.amdhsa_reserve_vcc 1
		.amdhsa_float_round_mode_32 0
		.amdhsa_float_round_mode_16_64 0
		.amdhsa_float_denorm_mode_32 3
		.amdhsa_float_denorm_mode_16_64 3
		.amdhsa_fp16_overflow 0
		.amdhsa_workgroup_processor_mode 1
		.amdhsa_memory_ordered 1
		.amdhsa_forward_progress 0
		.amdhsa_round_robin_scheduling 0
		.amdhsa_exception_fp_ieee_invalid_op 0
		.amdhsa_exception_fp_denorm_src 0
		.amdhsa_exception_fp_ieee_div_zero 0
		.amdhsa_exception_fp_ieee_overflow 0
		.amdhsa_exception_fp_ieee_underflow 0
		.amdhsa_exception_fp_ieee_inexact 0
		.amdhsa_exception_int_div_zero 0
	.end_amdhsa_kernel
	.text
.Lfunc_end0:
	.size	bluestein_single_fwd_len170_dim1_dp_op_CI_CI, .Lfunc_end0-bluestein_single_fwd_len170_dim1_dp_op_CI_CI
                                        ; -- End function
	.section	.AMDGPU.csdata,"",@progbits
; Kernel info:
; codeLenInByte = 21300
; NumSgprs: 60
; NumVgprs: 256
; ScratchSize: 596
; MemoryBound: 0
; FloatMode: 240
; IeeeMode: 1
; LDSByteSize: 19040 bytes/workgroup (compile time only)
; SGPRBlocks: 7
; VGPRBlocks: 31
; NumSGPRsForWavesPerEU: 60
; NumVGPRsForWavesPerEU: 256
; Occupancy: 5
; WaveLimiterHint : 1
; COMPUTE_PGM_RSRC2:SCRATCH_EN: 1
; COMPUTE_PGM_RSRC2:USER_SGPR: 2
; COMPUTE_PGM_RSRC2:TRAP_HANDLER: 0
; COMPUTE_PGM_RSRC2:TGID_X_EN: 1
; COMPUTE_PGM_RSRC2:TGID_Y_EN: 0
; COMPUTE_PGM_RSRC2:TGID_Z_EN: 0
; COMPUTE_PGM_RSRC2:TIDIG_COMP_CNT: 0
	.text
	.p2alignl 7, 3214868480
	.fill 96, 4, 3214868480
	.type	__hip_cuid_5cb8b409b2d6fae5,@object ; @__hip_cuid_5cb8b409b2d6fae5
	.section	.bss,"aw",@nobits
	.globl	__hip_cuid_5cb8b409b2d6fae5
__hip_cuid_5cb8b409b2d6fae5:
	.byte	0                               ; 0x0
	.size	__hip_cuid_5cb8b409b2d6fae5, 1

	.ident	"AMD clang version 19.0.0git (https://github.com/RadeonOpenCompute/llvm-project roc-6.4.0 25133 c7fe45cf4b819c5991fe208aaa96edf142730f1d)"
	.section	".note.GNU-stack","",@progbits
	.addrsig
	.addrsig_sym __hip_cuid_5cb8b409b2d6fae5
	.amdgpu_metadata
---
amdhsa.kernels:
  - .args:
      - .actual_access:  read_only
        .address_space:  global
        .offset:         0
        .size:           8
        .value_kind:     global_buffer
      - .actual_access:  read_only
        .address_space:  global
        .offset:         8
        .size:           8
        .value_kind:     global_buffer
      - .actual_access:  read_only
        .address_space:  global
        .offset:         16
        .size:           8
        .value_kind:     global_buffer
      - .actual_access:  read_only
        .address_space:  global
        .offset:         24
        .size:           8
        .value_kind:     global_buffer
      - .actual_access:  read_only
        .address_space:  global
        .offset:         32
        .size:           8
        .value_kind:     global_buffer
      - .offset:         40
        .size:           8
        .value_kind:     by_value
      - .address_space:  global
        .offset:         48
        .size:           8
        .value_kind:     global_buffer
      - .address_space:  global
        .offset:         56
        .size:           8
        .value_kind:     global_buffer
      - .address_space:  global
        .offset:         64
        .size:           8
        .value_kind:     global_buffer
      - .address_space:  global
        .offset:         72
        .size:           8
        .value_kind:     global_buffer
      - .offset:         80
        .size:           4
        .value_kind:     by_value
      - .address_space:  global
        .offset:         88
        .size:           8
        .value_kind:     global_buffer
      - .address_space:  global
        .offset:         96
        .size:           8
        .value_kind:     global_buffer
    .group_segment_fixed_size: 19040
    .kernarg_segment_align: 8
    .kernarg_segment_size: 104
    .language:       OpenCL C
    .language_version:
      - 2
      - 0
    .max_flat_workgroup_size: 119
    .name:           bluestein_single_fwd_len170_dim1_dp_op_CI_CI
    .private_segment_fixed_size: 596
    .sgpr_count:     60
    .sgpr_spill_count: 0
    .symbol:         bluestein_single_fwd_len170_dim1_dp_op_CI_CI.kd
    .uniform_work_group_size: 1
    .uses_dynamic_stack: false
    .vgpr_count:     256
    .vgpr_spill_count: 192
    .wavefront_size: 32
    .workgroup_processor_mode: 1
amdhsa.target:   amdgcn-amd-amdhsa--gfx1201
amdhsa.version:
  - 1
  - 2
...

	.end_amdgpu_metadata
